;; amdgpu-corpus repo=ROCm/rocFFT kind=compiled arch=gfx1100 opt=O3
	.text
	.amdgcn_target "amdgcn-amd-amdhsa--gfx1100"
	.amdhsa_code_object_version 6
	.protected	fft_rtc_fwd_len676_factors_13_13_4_wgs_52_tpt_52_dp_ip_CI_unitstride_sbrr_R2C_dirReg ; -- Begin function fft_rtc_fwd_len676_factors_13_13_4_wgs_52_tpt_52_dp_ip_CI_unitstride_sbrr_R2C_dirReg
	.globl	fft_rtc_fwd_len676_factors_13_13_4_wgs_52_tpt_52_dp_ip_CI_unitstride_sbrr_R2C_dirReg
	.p2align	8
	.type	fft_rtc_fwd_len676_factors_13_13_4_wgs_52_tpt_52_dp_ip_CI_unitstride_sbrr_R2C_dirReg,@function
fft_rtc_fwd_len676_factors_13_13_4_wgs_52_tpt_52_dp_ip_CI_unitstride_sbrr_R2C_dirReg: ; @fft_rtc_fwd_len676_factors_13_13_4_wgs_52_tpt_52_dp_ip_CI_unitstride_sbrr_R2C_dirReg
; %bb.0:
	s_clause 0x2
	s_load_b128 s[4:7], s[0:1], 0x0
	s_load_b64 s[8:9], s[0:1], 0x50
	s_load_b64 s[10:11], s[0:1], 0x18
	v_mul_u32_u24_e32 v1, 0x4ed, v0
	v_mov_b32_e32 v3, 0
	v_mov_b32_e32 v4, 0
	s_delay_alu instid0(VALU_DEP_3) | instskip(SKIP_1) | instid1(VALU_DEP_1)
	v_lshrrev_b32_e32 v2, 16, v1
	v_mov_b32_e32 v1, 0
	v_dual_mov_b32 v6, v1 :: v_dual_add_nc_u32 v5, s15, v2
	s_waitcnt lgkmcnt(0)
	v_cmp_lt_u64_e64 s2, s[6:7], 2
	s_delay_alu instid0(VALU_DEP_1)
	s_and_b32 vcc_lo, exec_lo, s2
	s_cbranch_vccnz .LBB0_8
; %bb.1:
	s_load_b64 s[2:3], s[0:1], 0x10
	v_mov_b32_e32 v3, 0
	s_add_u32 s12, s10, 8
	v_mov_b32_e32 v4, 0
	s_addc_u32 s13, s11, 0
	s_mov_b64 s[16:17], 1
	s_waitcnt lgkmcnt(0)
	s_add_u32 s14, s2, 8
	s_addc_u32 s15, s3, 0
.LBB0_2:                                ; =>This Inner Loop Header: Depth=1
	s_load_b64 s[18:19], s[14:15], 0x0
                                        ; implicit-def: $vgpr7_vgpr8
	s_mov_b32 s2, exec_lo
	s_waitcnt lgkmcnt(0)
	v_or_b32_e32 v2, s19, v6
	s_delay_alu instid0(VALU_DEP_1)
	v_cmpx_ne_u64_e32 0, v[1:2]
	s_xor_b32 s3, exec_lo, s2
	s_cbranch_execz .LBB0_4
; %bb.3:                                ;   in Loop: Header=BB0_2 Depth=1
	v_cvt_f32_u32_e32 v2, s18
	v_cvt_f32_u32_e32 v7, s19
	s_sub_u32 s2, 0, s18
	s_subb_u32 s20, 0, s19
	s_delay_alu instid0(VALU_DEP_1) | instskip(NEXT) | instid1(VALU_DEP_1)
	v_fmac_f32_e32 v2, 0x4f800000, v7
	v_rcp_f32_e32 v2, v2
	s_waitcnt_depctr 0xfff
	v_mul_f32_e32 v2, 0x5f7ffffc, v2
	s_delay_alu instid0(VALU_DEP_1) | instskip(NEXT) | instid1(VALU_DEP_1)
	v_mul_f32_e32 v7, 0x2f800000, v2
	v_trunc_f32_e32 v7, v7
	s_delay_alu instid0(VALU_DEP_1) | instskip(SKIP_1) | instid1(VALU_DEP_2)
	v_fmac_f32_e32 v2, 0xcf800000, v7
	v_cvt_u32_f32_e32 v7, v7
	v_cvt_u32_f32_e32 v2, v2
	s_delay_alu instid0(VALU_DEP_2) | instskip(NEXT) | instid1(VALU_DEP_2)
	v_mul_lo_u32 v8, s2, v7
	v_mul_hi_u32 v9, s2, v2
	v_mul_lo_u32 v10, s20, v2
	s_delay_alu instid0(VALU_DEP_2) | instskip(SKIP_1) | instid1(VALU_DEP_2)
	v_add_nc_u32_e32 v8, v9, v8
	v_mul_lo_u32 v9, s2, v2
	v_add_nc_u32_e32 v8, v8, v10
	s_delay_alu instid0(VALU_DEP_2) | instskip(NEXT) | instid1(VALU_DEP_2)
	v_mul_hi_u32 v10, v2, v9
	v_mul_lo_u32 v11, v2, v8
	v_mul_hi_u32 v12, v2, v8
	v_mul_hi_u32 v13, v7, v9
	v_mul_lo_u32 v9, v7, v9
	v_mul_hi_u32 v14, v7, v8
	v_mul_lo_u32 v8, v7, v8
	v_add_co_u32 v10, vcc_lo, v10, v11
	v_add_co_ci_u32_e32 v11, vcc_lo, 0, v12, vcc_lo
	s_delay_alu instid0(VALU_DEP_2) | instskip(NEXT) | instid1(VALU_DEP_2)
	v_add_co_u32 v9, vcc_lo, v10, v9
	v_add_co_ci_u32_e32 v9, vcc_lo, v11, v13, vcc_lo
	v_add_co_ci_u32_e32 v10, vcc_lo, 0, v14, vcc_lo
	s_delay_alu instid0(VALU_DEP_2) | instskip(NEXT) | instid1(VALU_DEP_2)
	v_add_co_u32 v8, vcc_lo, v9, v8
	v_add_co_ci_u32_e32 v9, vcc_lo, 0, v10, vcc_lo
	s_delay_alu instid0(VALU_DEP_2) | instskip(NEXT) | instid1(VALU_DEP_2)
	v_add_co_u32 v2, vcc_lo, v2, v8
	v_add_co_ci_u32_e32 v7, vcc_lo, v7, v9, vcc_lo
	s_delay_alu instid0(VALU_DEP_2) | instskip(SKIP_1) | instid1(VALU_DEP_3)
	v_mul_hi_u32 v8, s2, v2
	v_mul_lo_u32 v10, s20, v2
	v_mul_lo_u32 v9, s2, v7
	s_delay_alu instid0(VALU_DEP_1) | instskip(SKIP_1) | instid1(VALU_DEP_2)
	v_add_nc_u32_e32 v8, v8, v9
	v_mul_lo_u32 v9, s2, v2
	v_add_nc_u32_e32 v8, v8, v10
	s_delay_alu instid0(VALU_DEP_2) | instskip(NEXT) | instid1(VALU_DEP_2)
	v_mul_hi_u32 v10, v2, v9
	v_mul_lo_u32 v11, v2, v8
	v_mul_hi_u32 v12, v2, v8
	v_mul_hi_u32 v13, v7, v9
	v_mul_lo_u32 v9, v7, v9
	v_mul_hi_u32 v14, v7, v8
	v_mul_lo_u32 v8, v7, v8
	v_add_co_u32 v10, vcc_lo, v10, v11
	v_add_co_ci_u32_e32 v11, vcc_lo, 0, v12, vcc_lo
	s_delay_alu instid0(VALU_DEP_2) | instskip(NEXT) | instid1(VALU_DEP_2)
	v_add_co_u32 v9, vcc_lo, v10, v9
	v_add_co_ci_u32_e32 v9, vcc_lo, v11, v13, vcc_lo
	v_add_co_ci_u32_e32 v10, vcc_lo, 0, v14, vcc_lo
	s_delay_alu instid0(VALU_DEP_2) | instskip(NEXT) | instid1(VALU_DEP_2)
	v_add_co_u32 v8, vcc_lo, v9, v8
	v_add_co_ci_u32_e32 v9, vcc_lo, 0, v10, vcc_lo
	s_delay_alu instid0(VALU_DEP_2) | instskip(NEXT) | instid1(VALU_DEP_2)
	v_add_co_u32 v2, vcc_lo, v2, v8
	v_add_co_ci_u32_e32 v13, vcc_lo, v7, v9, vcc_lo
	s_delay_alu instid0(VALU_DEP_2) | instskip(SKIP_1) | instid1(VALU_DEP_3)
	v_mul_hi_u32 v14, v5, v2
	v_mad_u64_u32 v[9:10], null, v6, v2, 0
	v_mad_u64_u32 v[7:8], null, v5, v13, 0
	;; [unrolled: 1-line block ×3, first 2 shown]
	s_delay_alu instid0(VALU_DEP_2) | instskip(NEXT) | instid1(VALU_DEP_3)
	v_add_co_u32 v2, vcc_lo, v14, v7
	v_add_co_ci_u32_e32 v7, vcc_lo, 0, v8, vcc_lo
	s_delay_alu instid0(VALU_DEP_2) | instskip(NEXT) | instid1(VALU_DEP_2)
	v_add_co_u32 v2, vcc_lo, v2, v9
	v_add_co_ci_u32_e32 v2, vcc_lo, v7, v10, vcc_lo
	v_add_co_ci_u32_e32 v7, vcc_lo, 0, v12, vcc_lo
	s_delay_alu instid0(VALU_DEP_2) | instskip(NEXT) | instid1(VALU_DEP_2)
	v_add_co_u32 v2, vcc_lo, v2, v11
	v_add_co_ci_u32_e32 v9, vcc_lo, 0, v7, vcc_lo
	s_delay_alu instid0(VALU_DEP_2) | instskip(SKIP_1) | instid1(VALU_DEP_3)
	v_mul_lo_u32 v10, s19, v2
	v_mad_u64_u32 v[7:8], null, s18, v2, 0
	v_mul_lo_u32 v11, s18, v9
	s_delay_alu instid0(VALU_DEP_2) | instskip(NEXT) | instid1(VALU_DEP_2)
	v_sub_co_u32 v7, vcc_lo, v5, v7
	v_add3_u32 v8, v8, v11, v10
	s_delay_alu instid0(VALU_DEP_1) | instskip(NEXT) | instid1(VALU_DEP_1)
	v_sub_nc_u32_e32 v10, v6, v8
	v_subrev_co_ci_u32_e64 v10, s2, s19, v10, vcc_lo
	v_add_co_u32 v11, s2, v2, 2
	s_delay_alu instid0(VALU_DEP_1) | instskip(SKIP_3) | instid1(VALU_DEP_3)
	v_add_co_ci_u32_e64 v12, s2, 0, v9, s2
	v_sub_co_u32 v13, s2, v7, s18
	v_sub_co_ci_u32_e32 v8, vcc_lo, v6, v8, vcc_lo
	v_subrev_co_ci_u32_e64 v10, s2, 0, v10, s2
	v_cmp_le_u32_e32 vcc_lo, s18, v13
	s_delay_alu instid0(VALU_DEP_3) | instskip(SKIP_1) | instid1(VALU_DEP_4)
	v_cmp_eq_u32_e64 s2, s19, v8
	v_cndmask_b32_e64 v13, 0, -1, vcc_lo
	v_cmp_le_u32_e32 vcc_lo, s19, v10
	v_cndmask_b32_e64 v14, 0, -1, vcc_lo
	v_cmp_le_u32_e32 vcc_lo, s18, v7
	;; [unrolled: 2-line block ×3, first 2 shown]
	v_cndmask_b32_e64 v15, 0, -1, vcc_lo
	v_cmp_eq_u32_e32 vcc_lo, s19, v10
	s_delay_alu instid0(VALU_DEP_2) | instskip(SKIP_3) | instid1(VALU_DEP_3)
	v_cndmask_b32_e64 v7, v15, v7, s2
	v_cndmask_b32_e32 v10, v14, v13, vcc_lo
	v_add_co_u32 v13, vcc_lo, v2, 1
	v_add_co_ci_u32_e32 v14, vcc_lo, 0, v9, vcc_lo
	v_cmp_ne_u32_e32 vcc_lo, 0, v10
	s_delay_alu instid0(VALU_DEP_2) | instskip(NEXT) | instid1(VALU_DEP_4)
	v_cndmask_b32_e32 v8, v14, v12, vcc_lo
	v_cndmask_b32_e32 v10, v13, v11, vcc_lo
	v_cmp_ne_u32_e32 vcc_lo, 0, v7
	s_delay_alu instid0(VALU_DEP_2)
	v_dual_cndmask_b32 v7, v2, v10 :: v_dual_cndmask_b32 v8, v9, v8
.LBB0_4:                                ;   in Loop: Header=BB0_2 Depth=1
	s_and_not1_saveexec_b32 s2, s3
	s_cbranch_execz .LBB0_6
; %bb.5:                                ;   in Loop: Header=BB0_2 Depth=1
	v_cvt_f32_u32_e32 v2, s18
	s_sub_i32 s3, 0, s18
	s_delay_alu instid0(VALU_DEP_1) | instskip(SKIP_2) | instid1(VALU_DEP_1)
	v_rcp_iflag_f32_e32 v2, v2
	s_waitcnt_depctr 0xfff
	v_mul_f32_e32 v2, 0x4f7ffffe, v2
	v_cvt_u32_f32_e32 v2, v2
	s_delay_alu instid0(VALU_DEP_1) | instskip(NEXT) | instid1(VALU_DEP_1)
	v_mul_lo_u32 v7, s3, v2
	v_mul_hi_u32 v7, v2, v7
	s_delay_alu instid0(VALU_DEP_1) | instskip(NEXT) | instid1(VALU_DEP_1)
	v_add_nc_u32_e32 v2, v2, v7
	v_mul_hi_u32 v2, v5, v2
	s_delay_alu instid0(VALU_DEP_1) | instskip(SKIP_1) | instid1(VALU_DEP_2)
	v_mul_lo_u32 v7, v2, s18
	v_add_nc_u32_e32 v8, 1, v2
	v_sub_nc_u32_e32 v7, v5, v7
	s_delay_alu instid0(VALU_DEP_1) | instskip(SKIP_1) | instid1(VALU_DEP_2)
	v_subrev_nc_u32_e32 v9, s18, v7
	v_cmp_le_u32_e32 vcc_lo, s18, v7
	v_dual_cndmask_b32 v7, v7, v9 :: v_dual_cndmask_b32 v2, v2, v8
	s_delay_alu instid0(VALU_DEP_1) | instskip(NEXT) | instid1(VALU_DEP_2)
	v_cmp_le_u32_e32 vcc_lo, s18, v7
	v_add_nc_u32_e32 v8, 1, v2
	s_delay_alu instid0(VALU_DEP_1)
	v_dual_cndmask_b32 v7, v2, v8 :: v_dual_mov_b32 v8, v1
.LBB0_6:                                ;   in Loop: Header=BB0_2 Depth=1
	s_or_b32 exec_lo, exec_lo, s2
	s_load_b64 s[2:3], s[12:13], 0x0
	s_delay_alu instid0(VALU_DEP_1) | instskip(NEXT) | instid1(VALU_DEP_2)
	v_mul_lo_u32 v2, v8, s18
	v_mul_lo_u32 v11, v7, s19
	v_mad_u64_u32 v[9:10], null, v7, s18, 0
	s_add_u32 s16, s16, 1
	s_addc_u32 s17, s17, 0
	s_add_u32 s12, s12, 8
	s_addc_u32 s13, s13, 0
	;; [unrolled: 2-line block ×3, first 2 shown]
	s_delay_alu instid0(VALU_DEP_1) | instskip(SKIP_1) | instid1(VALU_DEP_2)
	v_add3_u32 v2, v10, v11, v2
	v_sub_co_u32 v9, vcc_lo, v5, v9
	v_sub_co_ci_u32_e32 v2, vcc_lo, v6, v2, vcc_lo
	s_waitcnt lgkmcnt(0)
	s_delay_alu instid0(VALU_DEP_2) | instskip(NEXT) | instid1(VALU_DEP_2)
	v_mul_lo_u32 v10, s3, v9
	v_mul_lo_u32 v2, s2, v2
	v_mad_u64_u32 v[5:6], null, s2, v9, v[3:4]
	v_cmp_ge_u64_e64 s2, s[16:17], s[6:7]
	s_delay_alu instid0(VALU_DEP_1) | instskip(NEXT) | instid1(VALU_DEP_2)
	s_and_b32 vcc_lo, exec_lo, s2
	v_add3_u32 v4, v10, v6, v2
	s_delay_alu instid0(VALU_DEP_3)
	v_mov_b32_e32 v3, v5
	s_cbranch_vccnz .LBB0_9
; %bb.7:                                ;   in Loop: Header=BB0_2 Depth=1
	v_dual_mov_b32 v5, v7 :: v_dual_mov_b32 v6, v8
	s_branch .LBB0_2
.LBB0_8:
	v_dual_mov_b32 v8, v6 :: v_dual_mov_b32 v7, v5
.LBB0_9:
	s_lshl_b64 s[2:3], s[6:7], 3
	v_mul_hi_u32 v1, 0x4ec4ec5, v0
	s_add_u32 s2, s10, s2
	s_addc_u32 s3, s11, s3
	s_load_b64 s[0:1], s[0:1], 0x20
	s_load_b64 s[2:3], s[2:3], 0x0
	s_delay_alu instid0(VALU_DEP_1) | instskip(NEXT) | instid1(VALU_DEP_1)
	v_mul_u32_u24_e32 v1, 52, v1
	v_sub_nc_u32_e32 v64, v0, v1
	s_delay_alu instid0(VALU_DEP_1)
	v_add_nc_u32_e32 v68, 52, v64
	v_add_nc_u32_e32 v71, 0x68, v64
	;; [unrolled: 1-line block ×3, first 2 shown]
	s_waitcnt lgkmcnt(0)
	v_cmp_gt_u64_e32 vcc_lo, s[0:1], v[7:8]
	v_mul_lo_u32 v2, s2, v8
	v_mul_lo_u32 v5, s3, v7
	v_mad_u64_u32 v[0:1], null, s2, v7, v[3:4]
	v_cmp_le_u64_e64 s0, s[0:1], v[7:8]
	s_delay_alu instid0(VALU_DEP_2) | instskip(NEXT) | instid1(VALU_DEP_2)
	v_add3_u32 v1, v5, v1, v2
	s_and_saveexec_b32 s1, s0
	s_delay_alu instid0(SALU_CYCLE_1)
	s_xor_b32 s0, exec_lo, s1
; %bb.10:
	v_add_nc_u32_e32 v68, 52, v64
	v_add_nc_u32_e32 v71, 0x68, v64
	;; [unrolled: 1-line block ×3, first 2 shown]
; %bb.11:
	s_or_saveexec_b32 s1, s0
	v_lshlrev_b64 v[66:67], 4, v[0:1]
	v_lshl_add_u32 v92, v64, 4, 0
	s_xor_b32 exec_lo, exec_lo, s1
	s_cbranch_execz .LBB0_13
; %bb.12:
	v_mov_b32_e32 v65, 0
	s_delay_alu instid0(VALU_DEP_3) | instskip(NEXT) | instid1(VALU_DEP_1)
	v_add_co_u32 v2, s0, s8, v66
	v_add_co_ci_u32_e64 v3, s0, s9, v67, s0
	s_delay_alu instid0(VALU_DEP_3) | instskip(NEXT) | instid1(VALU_DEP_1)
	v_lshlrev_b64 v[0:1], 4, v[64:65]
	v_add_co_u32 v24, s0, v2, v0
	s_delay_alu instid0(VALU_DEP_1) | instskip(NEXT) | instid1(VALU_DEP_2)
	v_add_co_ci_u32_e64 v25, s0, v3, v1, s0
	v_add_co_u32 v36, s0, 0x1000, v24
	s_delay_alu instid0(VALU_DEP_1) | instskip(SKIP_1) | instid1(VALU_DEP_1)
	v_add_co_ci_u32_e64 v37, s0, 0, v25, s0
	v_add_co_u32 v48, s0, 0x2000, v24
	v_add_co_ci_u32_e64 v49, s0, 0, v25, s0
	s_clause 0xc
	global_load_b128 v[0:3], v[24:25], off
	global_load_b128 v[4:7], v[24:25], off offset:832
	global_load_b128 v[8:11], v[24:25], off offset:1664
	;; [unrolled: 1-line block ×12, first 2 shown]
	s_waitcnt vmcnt(12)
	ds_store_b128 v92, v[0:3]
	s_waitcnt vmcnt(11)
	ds_store_b128 v92, v[4:7] offset:832
	s_waitcnt vmcnt(10)
	ds_store_b128 v92, v[8:11] offset:1664
	s_waitcnt vmcnt(9)
	ds_store_b128 v92, v[12:15] offset:2496
	s_waitcnt vmcnt(8)
	ds_store_b128 v92, v[16:19] offset:3328
	s_waitcnt vmcnt(7)
	ds_store_b128 v92, v[20:23] offset:4160
	s_waitcnt vmcnt(6)
	ds_store_b128 v92, v[24:27] offset:4992
	s_waitcnt vmcnt(5)
	ds_store_b128 v92, v[28:31] offset:5824
	s_waitcnt vmcnt(4)
	ds_store_b128 v92, v[32:35] offset:6656
	s_waitcnt vmcnt(3)
	ds_store_b128 v92, v[36:39] offset:7488
	s_waitcnt vmcnt(2)
	ds_store_b128 v92, v[40:43] offset:8320
	s_waitcnt vmcnt(1)
	ds_store_b128 v92, v[44:47] offset:9152
	s_waitcnt vmcnt(0)
	ds_store_b128 v92, v[48:51] offset:9984
.LBB0_13:
	s_or_b32 exec_lo, exec_lo, s1
	s_waitcnt lgkmcnt(0)
	s_barrier
	buffer_gl0_inv
	ds_load_b128 v[16:19], v92
	ds_load_b128 v[36:39], v92 offset:832
	ds_load_b128 v[44:47], v92 offset:1664
	;; [unrolled: 1-line block ×12, first 2 shown]
	s_mov_b32 s24, 0x4267c47c
	s_mov_b32 s16, 0x42a4c3d2
	;; [unrolled: 1-line block ×15, first 2 shown]
	s_waitcnt lgkmcnt(4)
	v_add_f64 v[80:81], v[34:35], -v[22:23]
	v_add_f64 v[82:83], v[32:33], -v[20:21]
	s_mov_b32 s3, 0x3fe22d96
	v_add_f64 v[54:55], v[18:19], v[38:39]
	v_add_f64 v[52:53], v[16:17], v[36:37]
	s_waitcnt lgkmcnt(2)
	v_add_f64 v[56:57], v[38:39], -v[2:3]
	v_add_f64 v[58:59], v[36:37], -v[0:1]
	s_waitcnt lgkmcnt(0)
	v_add_f64 v[60:61], v[46:47], -v[6:7]
	v_add_f64 v[62:63], v[44:45], -v[4:5]
	v_add_f64 v[88:89], v[36:37], v[0:1]
	v_add_f64 v[90:91], v[38:39], v[2:3]
	;; [unrolled: 1-line block ×4, first 2 shown]
	s_mov_b32 s6, 0xebaa3ed8
	s_mov_b32 s7, 0x3fbedb7d
	;; [unrolled: 1-line block ×8, first 2 shown]
	v_add_f64 v[72:73], v[50:51], -v[10:11]
	v_add_f64 v[74:75], v[48:49], -v[8:9]
	;; [unrolled: 1-line block ×3, first 2 shown]
	v_add_f64 v[38:39], v[30:31], v[26:27]
	s_mov_b32 s13, 0xbfe7f3cc
	s_mov_b32 s15, 0xbfef11f4
	;; [unrolled: 1-line block ×6, first 2 shown]
	v_add_f64 v[86:87], v[28:29], -v[24:25]
	v_add_f64 v[36:37], v[28:29], v[24:25]
	s_mov_b32 s41, 0x3fedeba7
	s_mov_b32 s40, s18
	v_add_f64 v[76:77], v[42:43], -v[14:15]
	v_add_f64 v[78:79], v[40:41], -v[12:13]
	v_add_f64 v[97:98], v[48:49], v[8:9]
	v_add_f64 v[99:100], v[50:51], v[10:11]
	s_mov_b32 s35, 0x3fcea1e5
	s_mov_b32 s37, 0x3fea55e2
	v_add_f64 v[54:55], v[54:55], v[46:47]
	v_add_f64 v[52:53], v[52:53], v[44:45]
	;; [unrolled: 1-line block ×3, first 2 shown]
	v_mul_f64 v[103:104], v[56:57], s[24:25]
	v_mul_f64 v[105:106], v[56:57], s[16:17]
	;; [unrolled: 1-line block ×7, first 2 shown]
	v_add_f64 v[46:47], v[32:33], v[20:21]
	v_mul_f64 v[111:112], v[56:57], s[20:21]
	v_mul_f64 v[56:57], v[56:57], s[22:23]
	;; [unrolled: 1-line block ×27, first 2 shown]
	v_add_f64 v[54:55], v[54:55], v[50:51]
	v_add_f64 v[52:53], v[52:53], v[48:49]
	v_mul_f64 v[177:178], v[74:75], s[16:17]
	v_fma_f64 v[195:196], v[88:89], s[0:1], -v[103:104]
	v_fma_f64 v[197:198], v[88:89], s[2:3], -v[105:106]
	v_fma_f64 v[207:208], v[90:91], s[2:3], v[115:116]
	v_fma_f64 v[105:106], v[88:89], s[2:3], v[105:106]
	v_fma_f64 v[199:200], v[88:89], s[6:7], -v[107:108]
	v_fma_f64 v[115:116], v[90:91], s[2:3], -v[115:116]
	v_fma_f64 v[209:210], v[90:91], s[6:7], v[117:118]
	v_fma_f64 v[201:202], v[88:89], s[10:11], -v[109:110]
	v_fma_f64 v[211:212], v[90:91], s[10:11], v[119:120]
	;; [unrolled: 2-line block ×5, first 2 shown]
	v_fma_f64 v[103:104], v[88:89], s[0:1], v[103:104]
	v_fma_f64 v[107:108], v[88:89], s[6:7], v[107:108]
	;; [unrolled: 1-line block ×5, first 2 shown]
	v_fma_f64 v[117:118], v[90:91], s[6:7], -v[117:118]
	v_fma_f64 v[113:114], v[90:91], s[0:1], -v[113:114]
	;; [unrolled: 1-line block ×5, first 2 shown]
	v_fma_f64 v[223:224], v[95:96], s[10:11], v[139:140]
	v_fma_f64 v[139:140], v[95:96], s[10:11], -v[139:140]
	v_fma_f64 v[231:232], v[93:94], s[14:15], -v[151:152]
	v_fma_f64 v[233:234], v[95:96], s[14:15], v[153:154]
	v_fma_f64 v[241:242], v[93:94], s[12:13], -v[161:162]
	v_fma_f64 v[243:244], v[95:96], s[12:13], v[163:164]
	v_mul_f64 v[74:75], v[74:75], s[20:21]
	v_fma_f64 v[217:218], v[95:96], s[2:3], v[125:126]
	v_fma_f64 v[123:124], v[93:94], s[2:3], v[123:124]
	;; [unrolled: 1-line block ×3, first 2 shown]
	v_add_f64 v[54:55], v[54:55], v[42:43]
	v_add_f64 v[127:128], v[52:53], v[40:41]
	v_fma_f64 v[161:162], v[93:94], s[12:13], v[161:162]
	v_add_f64 v[195:196], v[16:17], v[195:196]
	v_add_f64 v[197:198], v[16:17], v[197:198]
	;; [unrolled: 1-line block ×9, first 2 shown]
	v_fma_f64 v[245:246], v[93:94], s[6:7], -v[171:172]
	v_fma_f64 v[171:172], v[93:94], s[6:7], v[171:172]
	v_fma_f64 v[247:248], v[93:94], s[0:1], -v[60:61]
	v_fma_f64 v[60:61], v[93:94], s[0:1], v[60:61]
	v_fma_f64 v[249:250], v[95:96], s[0:1], v[62:63]
	v_add_f64 v[203:204], v[16:17], v[203:204]
	v_add_f64 v[213:214], v[18:19], v[213:214]
	;; [unrolled: 1-line block ×11, first 2 shown]
	v_fma_f64 v[62:63], v[95:96], s[0:1], -v[62:63]
	v_add_f64 v[113:114], v[18:19], v[113:114]
	v_add_f64 v[119:120], v[18:19], v[119:120]
	;; [unrolled: 1-line block ×4, first 2 shown]
	s_mov_b32 s34, s22
	s_mov_b32 s36, s16
	v_add_f64 v[101:102], v[40:41], v[12:13]
	v_add_f64 v[50:51], v[42:43], v[14:15]
	v_mul_f64 v[133:134], v[76:77], s[18:19]
	v_add_f64 v[34:35], v[54:55], v[34:35]
	v_add_f64 v[32:33], v[127:128], v[32:33]
	v_mul_f64 v[145:146], v[76:77], s[38:39]
	v_mul_f64 v[147:148], v[78:79], s[38:39]
	v_fma_f64 v[219:220], v[97:98], s[6:7], -v[129:130]
	v_fma_f64 v[225:226], v[97:98], s[14:15], -v[141:142]
	v_fma_f64 v[227:228], v[99:100], s[14:15], v[143:144]
	v_add_f64 v[90:91], v[90:91], v[195:196]
	v_add_f64 v[207:208], v[223:224], v[207:208]
	v_mul_f64 v[159:160], v[76:77], s[30:31]
	v_mul_f64 v[181:182], v[82:83], s[28:29]
	;; [unrolled: 1-line block ×3, first 2 shown]
	v_fma_f64 v[141:142], v[97:98], s[14:15], v[141:142]
	v_fma_f64 v[143:144], v[99:100], s[14:15], -v[143:144]
	v_fma_f64 v[235:236], v[97:98], s[10:11], -v[155:156]
	v_fma_f64 v[237:238], v[99:100], s[10:11], v[157:158]
	v_add_f64 v[115:116], v[139:140], v[115:116]
	v_add_f64 v[199:200], v[231:232], v[199:200]
	;; [unrolled: 1-line block ×3, first 2 shown]
	v_mul_f64 v[169:170], v[76:77], s[26:27]
	v_mul_f64 v[179:180], v[76:77], s[34:35]
	;; [unrolled: 1-line block ×4, first 2 shown]
	v_fma_f64 v[129:130], v[97:98], s[6:7], v[129:130]
	v_fma_f64 v[155:156], v[97:98], s[10:11], v[155:156]
	v_add_f64 v[201:202], v[241:242], v[201:202]
	v_add_f64 v[211:212], v[243:244], v[211:212]
	v_mul_f64 v[135:136], v[78:79], s[18:19]
	v_fma_f64 v[56:57], v[99:100], s[2:3], v[177:178]
	v_fma_f64 v[58:59], v[99:100], s[2:3], -v[177:178]
	v_fma_f64 v[177:178], v[99:100], s[12:13], v[74:75]
	v_mul_f64 v[223:224], v[78:79], s[34:35]
	v_mul_f64 v[78:79], v[78:79], s[36:37]
	v_add_f64 v[203:204], v[245:246], v[203:204]
	v_add_f64 v[111:112], v[171:172], v[111:112]
	v_add_f64 v[171:172], v[247:248], v[205:206]
	v_add_f64 v[205:206], v[249:250], v[215:216]
	v_fma_f64 v[221:222], v[99:100], s[6:7], v[131:132]
	v_add_f64 v[30:31], v[34:35], v[30:31]
	v_add_f64 v[28:29], v[32:33], v[28:29]
	v_fma_f64 v[34:35], v[93:94], s[10:11], -v[137:138]
	v_fma_f64 v[137:138], v[93:94], s[10:11], v[137:138]
	v_fma_f64 v[93:94], v[95:96], s[2:3], -v[125:126]
	v_fma_f64 v[125:126], v[95:96], s[14:15], -v[153:154]
	v_fma_f64 v[153:154], v[95:96], s[12:13], -v[163:164]
	v_fma_f64 v[163:164], v[95:96], s[6:7], v[173:174]
	v_fma_f64 v[173:174], v[95:96], s[6:7], -v[173:174]
	v_fma_f64 v[95:96], v[97:98], s[0:1], -v[165:166]
	v_fma_f64 v[165:166], v[97:98], s[0:1], v[165:166]
	v_add_f64 v[88:89], v[217:218], v[88:89]
	v_fma_f64 v[157:158], v[99:100], s[10:11], -v[157:158]
	v_add_f64 v[103:104], v[123:124], v[103:104]
	v_add_f64 v[107:108], v[151:152], v[107:108]
	v_add_f64 v[109:110], v[161:162], v[109:110]
	v_fma_f64 v[74:75], v[99:100], s[12:13], -v[74:75]
	v_add_f64 v[16:17], v[60:61], v[16:17]
	v_add_f64 v[18:19], v[62:63], v[18:19]
	v_fma_f64 v[131:132], v[99:100], s[6:7], -v[131:132]
	v_mul_f64 v[149:150], v[80:81], s[28:29]
	v_fma_f64 v[32:33], v[101:102], s[10:11], -v[133:134]
	v_fma_f64 v[229:230], v[101:102], s[12:13], -v[145:146]
	v_fma_f64 v[161:162], v[50:51], s[12:13], v[147:148]
	v_add_f64 v[90:91], v[219:220], v[90:91]
	v_mul_f64 v[185:186], v[80:81], s[16:17]
	v_mul_f64 v[187:188], v[82:83], s[16:17]
	v_fma_f64 v[239:240], v[101:102], s[0:1], -v[159:160]
	v_fma_f64 v[245:246], v[44:45], s[6:7], v[181:182]
	v_fma_f64 v[147:148], v[50:51], s[12:13], -v[147:148]
	v_add_f64 v[115:116], v[143:144], v[115:116]
	v_add_f64 v[143:144], v[237:238], v[209:210]
	v_fma_f64 v[145:146], v[101:102], s[12:13], v[145:146]
	v_fma_f64 v[133:134], v[101:102], s[10:11], v[133:134]
	;; [unrolled: 1-line block ×3, first 2 shown]
	v_mul_f64 v[195:196], v[82:83], s[34:35]
	v_fma_f64 v[62:63], v[50:51], s[6:7], v[193:194]
	v_mul_f64 v[52:53], v[80:81], s[20:21]
	v_add_f64 v[26:27], v[30:31], v[26:27]
	v_add_f64 v[24:25], v[28:29], v[24:25]
	;; [unrolled: 1-line block ×4, first 2 shown]
	v_fma_f64 v[28:29], v[97:98], s[2:3], -v[175:176]
	v_fma_f64 v[30:31], v[97:98], s[2:3], v[175:176]
	v_fma_f64 v[175:176], v[97:98], s[12:13], -v[72:73]
	v_fma_f64 v[72:73], v[97:98], s[12:13], v[72:73]
	v_fma_f64 v[97:98], v[99:100], s[0:1], v[167:168]
	v_add_f64 v[163:164], v[163:164], v[213:214]
	v_add_f64 v[121:122], v[173:174], v[121:122]
	;; [unrolled: 1-line block ×4, first 2 shown]
	v_fma_f64 v[167:168], v[99:100], s[0:1], -v[167:168]
	v_add_f64 v[119:120], v[153:154], v[119:120]
	v_add_f64 v[113:114], v[227:228], v[207:208]
	v_fma_f64 v[173:174], v[44:45], s[6:7], -v[181:182]
	v_fma_f64 v[181:182], v[50:51], s[0:1], v[183:184]
	v_fma_f64 v[99:100], v[101:102], s[6:7], -v[169:170]
	v_fma_f64 v[169:170], v[101:102], s[6:7], v[169:170]
	v_mul_f64 v[48:49], v[82:83], s[20:21]
	v_mul_f64 v[137:138], v[80:81], s[30:31]
	;; [unrolled: 1-line block ×4, first 2 shown]
	v_fma_f64 v[241:242], v[50:51], s[10:11], v[135:136]
	v_fma_f64 v[135:136], v[50:51], s[10:11], -v[135:136]
	v_fma_f64 v[183:184], v[50:51], s[0:1], -v[183:184]
	v_add_f64 v[88:89], v[221:222], v[88:89]
	v_add_f64 v[103:104], v[129:130], v[103:104]
	;; [unrolled: 1-line block ×5, first 2 shown]
	v_mul_f64 v[54:55], v[84:85], s[30:31]
	v_mul_f64 v[127:128], v[86:87], s[30:31]
	v_fma_f64 v[153:154], v[46:47], s[6:7], -v[149:150]
	v_add_f64 v[32:33], v[32:33], v[90:91]
	v_mul_f64 v[189:190], v[84:85], s[20:21]
	v_mul_f64 v[191:192], v[86:87], s[20:21]
	v_add_f64 v[22:23], v[26:27], v[22:23]
	v_add_f64 v[20:21], v[24:25], v[20:21]
	;; [unrolled: 1-line block ×5, first 2 shown]
	v_fma_f64 v[24:25], v[101:102], s[14:15], -v[179:180]
	v_fma_f64 v[26:27], v[101:102], s[14:15], v[179:180]
	v_fma_f64 v[179:180], v[101:102], s[2:3], -v[76:77]
	v_fma_f64 v[76:77], v[101:102], s[2:3], v[76:77]
	v_mul_f64 v[101:102], v[80:81], s[34:35]
	v_add_f64 v[28:29], v[28:29], v[203:204]
	v_add_f64 v[56:57], v[56:57], v[163:164]
	;; [unrolled: 1-line block ×4, first 2 shown]
	v_fma_f64 v[121:122], v[50:51], s[2:3], v[78:79]
	v_mul_f64 v[80:81], v[80:81], s[18:19]
	v_add_f64 v[117:118], v[157:158], v[117:118]
	v_add_f64 v[111:112], v[175:176], v[171:172]
	;; [unrolled: 1-line block ×6, first 2 shown]
	v_fma_f64 v[213:214], v[46:47], s[2:3], -v[185:186]
	v_fma_f64 v[60:61], v[44:45], s[2:3], v[187:188]
	v_add_f64 v[113:114], v[147:148], v[115:116]
	v_add_f64 v[131:132], v[181:182], v[143:144]
	v_mul_f64 v[217:218], v[84:85], s[36:37]
	v_mul_f64 v[197:198], v[86:87], s[36:37]
	v_fma_f64 v[247:248], v[44:45], s[14:15], v[195:196]
	v_mul_f64 v[40:41], v[84:85], s[22:23]
	v_mul_f64 v[231:232], v[84:85], s[18:19]
	;; [unrolled: 1-line block ×3, first 2 shown]
	v_fma_f64 v[243:244], v[46:47], s[12:13], -v[52:53]
	v_mul_f64 v[42:43], v[86:87], s[22:23]
	v_fma_f64 v[123:124], v[44:45], s[12:13], v[48:49]
	v_add_f64 v[88:89], v[241:242], v[88:89]
	v_fma_f64 v[149:150], v[46:47], s[6:7], v[149:150]
	v_mul_f64 v[84:85], v[84:85], s[28:29]
	v_add_f64 v[14:15], v[22:23], v[14:15]
	v_add_f64 v[22:23], v[95:96], v[201:202]
	;; [unrolled: 1-line block ×4, first 2 shown]
	v_fma_f64 v[20:21], v[50:51], s[6:7], -v[193:194]
	v_fma_f64 v[97:98], v[50:51], s[14:15], v[223:224]
	v_fma_f64 v[193:194], v[50:51], s[14:15], -v[223:224]
	v_fma_f64 v[50:51], v[50:51], s[2:3], -v[78:79]
	v_add_f64 v[78:79], v[177:178], v[205:206]
	v_add_f64 v[34:35], v[229:230], v[34:35]
	;; [unrolled: 1-line block ×3, first 2 shown]
	v_fma_f64 v[215:216], v[46:47], s[14:15], -v[101:102]
	v_fma_f64 v[74:75], v[46:47], s[14:15], v[101:102]
	v_fma_f64 v[101:102], v[46:47], s[0:1], -v[137:138]
	v_add_f64 v[24:25], v[24:25], v[28:29]
	v_add_f64 v[26:27], v[26:27], v[30:31]
	v_add_f64 v[105:106], v[145:146], v[105:106]
	v_mul_f64 v[86:87], v[86:87], s[28:29]
	v_fma_f64 v[52:53], v[46:47], s[12:13], v[52:53]
	v_fma_f64 v[129:130], v[46:47], s[0:1], v[137:138]
	v_fma_f64 v[137:138], v[46:47], s[10:11], -v[80:81]
	v_fma_f64 v[155:156], v[44:45], s[2:3], -v[187:188]
	v_add_f64 v[109:110], v[169:170], v[109:110]
	v_fma_f64 v[72:73], v[46:47], s[2:3], v[185:186]
	v_fma_f64 v[46:47], v[46:47], s[10:11], v[80:81]
	v_add_f64 v[16:17], v[76:77], v[16:17]
	v_fma_f64 v[76:77], v[44:45], s[10:11], -v[82:83]
	v_add_f64 v[90:91], v[245:246], v[90:91]
	v_add_f64 v[60:61], v[60:61], v[131:132]
	v_fma_f64 v[151:152], v[36:37], s[14:15], -v[40:41]
	v_fma_f64 v[80:81], v[38:39], s[0:1], -v[127:128]
	v_fma_f64 v[131:132], v[38:39], s[12:13], -v[191:192]
	v_add_f64 v[32:33], v[243:244], v[32:33]
	v_fma_f64 v[125:126], v[38:39], s[14:15], v[42:43]
	v_add_f64 v[88:89], v[123:124], v[88:89]
	v_fma_f64 v[123:124], v[36:37], s[10:11], v[231:232]
	s_barrier
	v_add_f64 v[10:11], v[14:15], v[10:11]
	v_add_f64 v[14:15], v[99:100], v[22:23]
	;; [unrolled: 1-line block ×3, first 2 shown]
	v_fma_f64 v[62:63], v[44:45], s[0:1], v[139:140]
	v_fma_f64 v[95:96], v[44:45], s[0:1], -v[139:140]
	v_add_f64 v[28:29], v[97:98], v[56:57]
	v_add_f64 v[30:31], v[193:194], v[58:59]
	v_fma_f64 v[97:98], v[44:45], s[10:11], v[82:83]
	v_add_f64 v[78:79], v[121:122], v[78:79]
	v_add_f64 v[8:9], v[12:13], v[8:9]
	;; [unrolled: 1-line block ×7, first 2 shown]
	v_fma_f64 v[12:13], v[44:45], s[14:15], -v[195:196]
	v_fma_f64 v[44:45], v[44:45], s[12:13], -v[48:49]
	v_add_f64 v[48:49], v[135:136], v[93:94]
	v_add_f64 v[20:21], v[20:21], v[119:120]
	v_fma_f64 v[58:59], v[36:37], s[0:1], -v[54:55]
	v_fma_f64 v[50:51], v[38:39], s[0:1], v[127:128]
	v_add_f64 v[34:35], v[153:154], v[34:35]
	v_fma_f64 v[82:83], v[36:37], s[12:13], -v[189:190]
	v_add_f64 v[111:112], v[213:214], v[115:116]
	v_fma_f64 v[115:116], v[38:39], s[12:13], v[191:192]
	v_fma_f64 v[119:120], v[36:37], s[2:3], -v[217:218]
	v_fma_f64 v[121:122], v[38:39], s[2:3], v[197:198]
	v_add_f64 v[101:102], v[101:102], v[24:25]
	v_add_f64 v[93:94], v[149:150], v[105:106]
	;; [unrolled: 1-line block ×4, first 2 shown]
	v_fma_f64 v[109:110], v[38:39], s[6:7], v[86:87]
	v_add_f64 v[46:47], v[46:47], v[16:17]
	v_fma_f64 v[86:87], v[38:39], s[6:7], -v[86:87]
	v_fma_f64 v[54:55], v[36:37], s[0:1], v[54:55]
	v_add_f64 v[26:27], v[129:130], v[26:27]
	v_fma_f64 v[127:128], v[38:39], s[10:11], -v[233:234]
	v_fma_f64 v[133:134], v[36:37], s[14:15], v[40:41]
	v_add_f64 v[10:11], v[10:11], v[6:7]
	v_add_f64 v[117:118], v[215:216], v[14:15]
	;; [unrolled: 1-line block ×3, first 2 shown]
	v_fma_f64 v[135:136], v[38:39], s[14:15], -v[42:43]
	v_fma_f64 v[129:130], v[38:39], s[2:3], -v[197:198]
	v_add_f64 v[62:63], v[62:63], v[28:29]
	v_add_f64 v[30:31], v[95:96], v[30:31]
	v_fma_f64 v[95:96], v[36:37], s[10:11], -v[231:232]
	v_add_f64 v[78:79], v[97:98], v[78:79]
	v_fma_f64 v[97:98], v[38:39], s[10:11], v[233:234]
	v_add_f64 v[113:114], v[8:9], v[4:5]
	v_add_f64 v[52:53], v[52:53], v[99:100]
	;; [unrolled: 1-line block ×4, first 2 shown]
	v_fma_f64 v[107:108], v[36:37], s[6:7], -v[84:85]
	v_add_f64 v[76:77], v[76:77], v[18:19]
	v_fma_f64 v[84:85], v[36:37], s[6:7], v[84:85]
	v_add_f64 v[137:138], v[44:45], v[48:49]
	v_add_f64 v[72:73], v[72:73], v[103:104]
	;; [unrolled: 1-line block ×3, first 2 shown]
	v_fma_f64 v[28:29], v[36:37], s[2:3], v[217:218]
	v_fma_f64 v[24:25], v[36:37], s[12:13], v[189:190]
	v_add_f64 v[8:9], v[58:59], v[34:35]
	v_add_f64 v[16:17], v[82:83], v[111:112]
	;; [unrolled: 1-line block ×5, first 2 shown]
	buffer_gl0_inv
	v_add_f64 v[14:15], v[80:81], v[105:106]
	v_add_f64 v[12:13], v[54:55], v[93:94]
	v_and_b32_e32 v54, 0xff, v64
	v_add_f64 v[44:45], v[123:124], v[26:27]
	v_lshl_add_u32 v94, v71, 4, 0
	v_add_f64 v[2:3], v[10:11], v[2:3]
	v_add_f64 v[10:11], v[50:51], v[90:91]
	;; [unrolled: 1-line block ×4, first 2 shown]
	v_lshl_add_u32 v93, v70, 4, 0
	v_add_f64 v[32:33], v[95:96], v[101:102]
	v_add_f64 v[38:39], v[109:110], v[78:79]
	;; [unrolled: 1-line block ×6, first 2 shown]
	v_mul_lo_u16 v52, 0x4f, v54
	v_add_f64 v[36:37], v[107:108], v[56:57]
	v_add_f64 v[42:43], v[86:87], v[76:77]
	;; [unrolled: 1-line block ×8, first 2 shown]
	v_lshrrev_b16 v65, 10, v52
	v_mad_u32_u24 v53, 0xc0, v64, v92
	v_lshl_add_u32 v95, v68, 4, 0
	ds_store_b128 v53, v[8:11] offset:32
	ds_store_b128 v53, v[16:19] offset:48
	;; [unrolled: 1-line block ×5, first 2 shown]
	ds_store_b128 v53, v[0:3]
	ds_store_b128 v53, v[36:39] offset:96
	ds_store_b128 v53, v[40:43] offset:112
	v_mul_lo_u16 v52, v65, 13
	ds_store_b128 v53, v[44:47] offset:128
	ds_store_b128 v53, v[28:31] offset:144
	;; [unrolled: 1-line block ×4, first 2 shown]
	v_sub_nc_u16 v52, v64, v52
	ds_store_b128 v53, v[48:51] offset:192
	s_waitcnt lgkmcnt(0)
	s_barrier
	buffer_gl0_inv
	v_and_b32_e32 v69, 0xff, v52
	s_delay_alu instid0(VALU_DEP_1) | instskip(NEXT) | instid1(VALU_DEP_1)
	v_mul_u32_u24_e32 v0, 12, v69
	v_lshlrev_b32_e32 v0, 4, v0
	s_clause 0xb
	global_load_b128 v[4:7], v0, s[4:5]
	global_load_b128 v[8:11], v0, s[4:5] offset:176
	global_load_b128 v[12:15], v0, s[4:5] offset:16
	global_load_b128 v[16:19], v0, s[4:5] offset:32
	global_load_b128 v[20:23], v0, s[4:5] offset:48
	global_load_b128 v[26:29], v0, s[4:5] offset:160
	global_load_b128 v[32:35], v0, s[4:5] offset:144
	global_load_b128 v[40:43], v0, s[4:5] offset:128
	global_load_b128 v[44:47], v0, s[4:5] offset:64
	global_load_b128 v[48:51], v0, s[4:5] offset:80
	global_load_b128 v[52:55], v0, s[4:5] offset:112
	global_load_b128 v[56:59], v0, s[4:5] offset:96
	ds_load_b128 v[36:39], v95
	ds_load_b128 v[60:63], v92 offset:9984
	ds_load_b128 v[72:75], v94
	ds_load_b128 v[76:79], v93
	ds_load_b128 v[80:83], v92 offset:3328
	ds_load_b128 v[84:87], v92 offset:9152
	;; [unrolled: 1-line block ×8, first 2 shown]
	ds_load_b128 v[0:3], v92
	s_waitcnt vmcnt(0) lgkmcnt(0)
	s_barrier
	buffer_gl0_inv
	v_mul_f64 v[24:25], v[38:39], v[6:7]
	v_mul_f64 v[6:7], v[36:37], v[6:7]
	;; [unrolled: 1-line block ×24, first 2 shown]
	v_fma_f64 v[140:141], v[36:37], v[4:5], -v[24:25]
	v_fma_f64 v[142:143], v[38:39], v[4:5], v[6:7]
	v_fma_f64 v[4:5], v[62:63], v[8:9], v[30:31]
	v_fma_f64 v[6:7], v[60:61], v[8:9], -v[10:11]
	v_fma_f64 v[38:39], v[72:73], v[12:13], -v[116:117]
	v_fma_f64 v[36:37], v[74:75], v[12:13], v[14:15]
	v_fma_f64 v[8:9], v[86:87], v[26:27], v[122:123]
	v_fma_f64 v[10:11], v[84:85], v[26:27], -v[124:125]
	v_fma_f64 v[12:13], v[90:91], v[32:33], v[126:127]
	v_fma_f64 v[14:15], v[88:89], v[32:33], -v[34:35]
	v_fma_f64 v[30:31], v[76:77], v[16:17], -v[118:119]
	v_fma_f64 v[28:29], v[78:79], v[16:17], v[18:19]
	v_fma_f64 v[24:25], v[82:83], v[20:21], v[120:121]
	v_fma_f64 v[26:27], v[80:81], v[20:21], -v[22:23]
	v_fma_f64 v[32:33], v[110:111], v[56:57], v[138:139]
	v_fma_f64 v[34:35], v[108:109], v[56:57], -v[58:59]
	;; [unrolled: 2-line block ×4, first 2 shown]
	v_fma_f64 v[50:51], v[100:101], v[44:45], -v[130:131]
	v_fma_f64 v[46:47], v[102:103], v[44:45], v[46:47]
	v_fma_f64 v[42:43], v[104:105], v[48:49], -v[132:133]
	v_fma_f64 v[40:41], v[106:107], v[48:49], v[134:135]
	v_add_f64 v[90:91], v[0:1], v[140:141]
	v_add_f64 v[88:89], v[2:3], v[142:143]
	v_add_f64 v[86:87], v[142:143], -v[4:5]
	v_add_f64 v[84:85], v[140:141], -v[6:7]
	v_add_f64 v[62:63], v[140:141], v[6:7]
	v_add_f64 v[60:61], v[142:143], v[4:5]
	v_add_f64 v[80:81], v[36:37], -v[8:9]
	v_add_f64 v[72:73], v[38:39], -v[10:11]
	;; [unrolled: 4-line block ×3, first 2 shown]
	v_add_f64 v[54:55], v[30:31], v[14:15]
	v_add_f64 v[52:53], v[28:29], v[12:13]
	v_add_f64 v[78:79], v[24:25], -v[16:17]
	v_add_f64 v[48:49], v[26:27], v[18:19]
	v_add_f64 v[82:83], v[26:27], -v[18:19]
	;; [unrolled: 2-line block ×3, first 2 shown]
	v_add_f64 v[96:97], v[46:47], -v[20:21]
	v_add_f64 v[104:105], v[46:47], v[20:21]
	v_add_f64 v[100:101], v[40:41], -v[32:33]
	v_add_f64 v[102:103], v[42:43], -v[34:35]
	v_add_f64 v[106:107], v[42:43], v[34:35]
	v_add_f64 v[108:109], v[40:41], v[32:33]
	;; [unrolled: 1-line block ×4, first 2 shown]
	v_mul_f64 v[110:111], v[86:87], s[24:25]
	v_mul_f64 v[112:113], v[86:87], s[16:17]
	;; [unrolled: 1-line block ×31, first 2 shown]
	v_add_f64 v[90:91], v[50:51], v[22:23]
	v_mul_f64 v[74:75], v[74:75], s[20:21]
	v_mul_f64 v[136:137], v[78:79], s[18:19]
	;; [unrolled: 1-line block ×4, first 2 shown]
	v_add_f64 v[30:31], v[38:39], v[30:31]
	v_add_f64 v[28:29], v[36:37], v[28:29]
	v_fma_f64 v[184:185], v[62:63], s[0:1], -v[110:111]
	v_fma_f64 v[110:111], v[62:63], s[0:1], v[110:111]
	v_fma_f64 v[186:187], v[62:63], s[2:3], -v[112:113]
	v_fma_f64 v[194:195], v[60:61], s[0:1], v[118:119]
	v_fma_f64 v[118:119], v[60:61], s[0:1], -v[118:119]
	v_fma_f64 v[198:199], v[60:61], s[2:3], v[120:121]
	v_fma_f64 v[112:113], v[62:63], s[2:3], v[112:113]
	v_fma_f64 v[188:189], v[62:63], s[6:7], -v[88:89]
	v_fma_f64 v[88:89], v[62:63], s[6:7], v[88:89]
	v_fma_f64 v[190:191], v[62:63], s[10:11], -v[114:115]
	;; [unrolled: 2-line block ×5, first 2 shown]
	v_fma_f64 v[120:121], v[60:61], s[6:7], v[122:123]
	v_fma_f64 v[200:201], v[60:61], s[10:11], v[124:125]
	v_mul_f64 v[38:39], v[80:81], s[28:29]
	v_mul_f64 v[80:81], v[80:81], s[30:31]
	;; [unrolled: 1-line block ×3, first 2 shown]
	v_fma_f64 v[202:203], v[60:61], s[14:15], v[84:85]
	v_fma_f64 v[122:123], v[60:61], s[6:7], -v[122:123]
	v_fma_f64 v[124:125], v[60:61], s[10:11], -v[124:125]
	;; [unrolled: 1-line block ×4, first 2 shown]
	v_fma_f64 v[212:213], v[56:57], s[10:11], v[140:141]
	v_fma_f64 v[220:221], v[58:59], s[14:15], -v[148:149]
	v_fma_f64 v[222:223], v[56:57], s[14:15], v[150:151]
	v_fma_f64 v[230:231], v[58:59], s[12:13], -v[158:159]
	v_fma_f64 v[232:233], v[56:57], s[12:13], v[160:161]
	v_fma_f64 v[242:243], v[56:57], s[6:7], v[168:169]
	v_mul_f64 v[72:73], v[76:77], s[20:21]
	v_fma_f64 v[138:139], v[58:59], s[10:11], v[138:139]
	v_fma_f64 v[148:149], v[58:59], s[14:15], v[148:149]
	v_fma_f64 v[168:169], v[56:57], s[6:7], -v[168:169]
	v_add_f64 v[26:27], v[30:31], v[26:27]
	v_add_f64 v[24:25], v[28:29], v[24:25]
	v_fma_f64 v[30:31], v[60:61], s[12:13], v[126:127]
	v_fma_f64 v[126:127], v[60:61], s[12:13], -v[126:127]
	v_fma_f64 v[60:61], v[60:61], s[14:15], -v[84:85]
	v_fma_f64 v[84:85], v[58:59], s[2:3], v[128:129]
	v_add_f64 v[110:111], v[0:1], v[110:111]
	v_add_f64 v[118:119], v[2:3], v[118:119]
	;; [unrolled: 1-line block ×6, first 2 shown]
	v_fma_f64 v[128:129], v[58:59], s[2:3], -v[128:129]
	v_add_f64 v[192:193], v[0:1], v[192:193]
	v_add_f64 v[184:185], v[0:1], v[184:185]
	;; [unrolled: 1-line block ×7, first 2 shown]
	v_fma_f64 v[240:241], v[58:59], s[6:7], -v[38:39]
	v_fma_f64 v[248:249], v[58:59], s[0:1], -v[80:81]
	v_fma_f64 v[80:81], v[58:59], s[0:1], v[80:81]
	v_add_f64 v[202:203], v[2:3], v[202:203]
	v_fma_f64 v[38:39], v[58:59], s[6:7], v[38:39]
	v_add_f64 v[112:113], v[0:1], v[112:113]
	v_add_f64 v[86:87], v[2:3], v[86:87]
	;; [unrolled: 1-line block ×7, first 2 shown]
	v_fma_f64 v[158:159], v[58:59], s[12:13], v[158:159]
	v_fma_f64 v[160:161], v[56:57], s[12:13], -v[160:161]
	v_fma_f64 v[150:151], v[56:57], s[14:15], -v[150:151]
	;; [unrolled: 1-line block ×3, first 2 shown]
	v_mul_f64 v[166:167], v[78:79], s[26:27]
	v_mul_f64 v[174:175], v[78:79], s[34:35]
	v_add_f64 v[26:27], v[26:27], v[50:51]
	v_add_f64 v[24:25], v[24:25], v[46:47]
	;; [unrolled: 1-line block ×3, first 2 shown]
	v_fma_f64 v[50:51], v[56:57], s[0:1], v[36:37]
	v_fma_f64 v[36:37], v[56:57], s[0:1], -v[36:37]
	v_add_f64 v[60:61], v[2:3], v[60:61]
	v_add_f64 v[2:3], v[2:3], v[126:127]
	v_fma_f64 v[46:47], v[56:57], s[2:3], v[130:131]
	v_mul_f64 v[76:77], v[78:79], s[36:37]
	v_mul_f64 v[78:79], v[82:83], s[36:37]
	;; [unrolled: 1-line block ×7, first 2 shown]
	v_fma_f64 v[28:29], v[54:55], s[6:7], v[132:133]
	v_fma_f64 v[206:207], v[52:53], s[6:7], -v[134:135]
	v_fma_f64 v[214:215], v[54:55], s[14:15], -v[142:143]
	v_fma_f64 v[216:217], v[52:53], s[14:15], v[144:145]
	v_add_f64 v[84:85], v[84:85], v[110:111]
	v_add_f64 v[118:119], v[204:205], v[118:119]
	;; [unrolled: 1-line block ×4, first 2 shown]
	v_fma_f64 v[224:225], v[54:55], s[10:11], -v[152:153]
	v_fma_f64 v[226:227], v[52:53], s[10:11], v[154:155]
	v_add_f64 v[188:189], v[220:221], v[188:189]
	v_add_f64 v[120:121], v[222:223], v[120:121]
	v_fma_f64 v[234:235], v[54:55], s[0:1], -v[162:163]
	v_fma_f64 v[236:237], v[52:53], s[0:1], v[164:165]
	v_add_f64 v[190:191], v[230:231], v[190:191]
	v_add_f64 v[200:201], v[232:233], v[200:201]
	v_fma_f64 v[244:245], v[54:55], s[2:3], -v[170:171]
	v_fma_f64 v[246:247], v[52:53], s[2:3], v[172:173]
	v_add_f64 v[192:193], v[240:241], v[192:193]
	v_fma_f64 v[56:57], v[54:55], s[12:13], -v[72:73]
	v_fma_f64 v[130:131], v[54:55], s[6:7], -v[132:133]
	v_fma_f64 v[132:133], v[54:55], s[14:15], v[142:143]
	v_fma_f64 v[142:143], v[54:55], s[10:11], v[152:153]
	v_add_f64 v[26:27], v[26:27], v[42:43]
	v_add_f64 v[24:25], v[24:25], v[40:41]
	;; [unrolled: 1-line block ×3, first 2 shown]
	v_fma_f64 v[152:153], v[54:55], s[0:1], v[162:163]
	v_fma_f64 v[162:163], v[52:53], s[12:13], v[74:75]
	v_add_f64 v[196:197], v[248:249], v[196:197]
	v_add_f64 v[50:51], v[50:51], v[202:203]
	v_fma_f64 v[72:73], v[54:55], s[12:13], v[72:73]
	v_fma_f64 v[74:75], v[52:53], s[12:13], -v[74:75]
	v_add_f64 v[62:63], v[80:81], v[62:63]
	v_add_f64 v[36:37], v[36:37], v[60:61]
	v_fma_f64 v[54:55], v[54:55], s[2:3], v[170:171]
	v_fma_f64 v[134:135], v[52:53], s[6:7], v[134:135]
	v_fma_f64 v[144:145], v[52:53], s[14:15], -v[144:145]
	v_fma_f64 v[154:155], v[52:53], s[10:11], -v[154:155]
	;; [unrolled: 1-line block ×4, first 2 shown]
	v_add_f64 v[128:129], v[128:129], v[184:185]
	v_add_f64 v[112:113], v[138:139], v[112:113]
	;; [unrolled: 1-line block ×10, first 2 shown]
	v_fma_f64 v[208:209], v[48:49], s[10:11], v[136:137]
	v_fma_f64 v[218:219], v[48:49], s[12:13], -v[146:147]
	v_fma_f64 v[228:229], v[48:49], s[0:1], -v[156:157]
	v_fma_f64 v[238:239], v[48:49], s[6:7], -v[166:167]
	v_fma_f64 v[58:59], v[48:49], s[14:15], -v[174:175]
	v_fma_f64 v[170:171], v[48:49], s[2:3], -v[76:77]
	v_fma_f64 v[76:77], v[48:49], s[2:3], v[76:77]
	v_fma_f64 v[136:137], v[48:49], s[10:11], -v[136:137]
	v_fma_f64 v[146:147], v[48:49], s[12:13], v[146:147]
	v_fma_f64 v[156:157], v[48:49], s[0:1], v[156:157]
	;; [unrolled: 1-line block ×3, first 2 shown]
	v_add_f64 v[26:27], v[26:27], v[34:35]
	v_add_f64 v[24:25], v[24:25], v[32:33]
	v_fma_f64 v[48:49], v[48:49], s[14:15], v[174:175]
	v_fma_f64 v[172:173], v[44:45], s[2:3], v[78:79]
	v_fma_f64 v[78:79], v[44:45], s[2:3], -v[78:79]
	v_fma_f64 v[174:175], v[44:45], s[10:11], -v[176:177]
	v_fma_f64 v[176:177], v[44:45], s[10:11], v[176:177]
	v_fma_f64 v[42:43], v[44:45], s[12:13], v[178:179]
	v_fma_f64 v[178:179], v[44:45], s[12:13], -v[178:179]
	v_fma_f64 v[40:41], v[44:45], s[0:1], v[180:181]
	v_fma_f64 v[180:181], v[44:45], s[0:1], -v[180:181]
	;; [unrolled: 2-line block ×4, first 2 shown]
	v_mul_f64 v[82:83], v[96:97], s[20:21]
	v_mul_f64 v[110:111], v[98:99], s[20:21]
	;; [unrolled: 1-line block ×4, first 2 shown]
	v_add_f64 v[28:29], v[28:29], v[84:85]
	v_add_f64 v[118:119], v[206:207], v[118:119]
	;; [unrolled: 1-line block ×4, first 2 shown]
	v_mul_f64 v[232:233], v[96:97], s[16:17]
	v_mul_f64 v[240:241], v[98:99], s[16:17]
	v_add_f64 v[188:189], v[224:225], v[188:189]
	v_add_f64 v[120:121], v[226:227], v[120:121]
	v_mul_f64 v[34:35], v[96:97], s[34:35]
	v_mul_f64 v[32:33], v[98:99], s[34:35]
	v_add_f64 v[190:191], v[234:235], v[190:191]
	v_add_f64 v[200:201], v[236:237], v[200:201]
	;; [unrolled: 4-line block ×4, first 2 shown]
	v_add_f64 v[20:21], v[24:25], v[20:21]
	v_add_f64 v[50:51], v[162:163], v[50:51]
	;; [unrolled: 1-line block ×14, first 2 shown]
	v_mul_f64 v[222:223], v[100:101], s[30:31]
	v_mul_f64 v[230:231], v[102:103], s[30:31]
	v_fma_f64 v[158:159], v[90:91], s[12:13], v[82:83]
	v_fma_f64 v[38:39], v[104:105], s[12:13], -v[110:111]
	v_fma_f64 v[150:151], v[90:91], s[6:7], -v[212:213]
	v_fma_f64 v[140:141], v[104:105], s[6:7], v[220:221]
	v_add_f64 v[28:29], v[208:209], v[28:29]
	v_add_f64 v[118:119], v[174:175], v[118:119]
	;; [unrolled: 1-line block ×4, first 2 shown]
	v_mul_f64 v[242:243], v[100:101], s[20:21]
	v_mul_f64 v[248:249], v[102:103], s[20:21]
	v_fma_f64 v[206:207], v[90:91], s[2:3], -v[232:233]
	v_fma_f64 v[26:27], v[104:105], s[2:3], v[240:241]
	v_add_f64 v[132:133], v[228:229], v[188:189]
	v_add_f64 v[40:41], v[40:41], v[120:121]
	v_mul_f64 v[204:205], v[100:101], s[22:23]
	v_mul_f64 v[210:211], v[102:103], s[22:23]
	;; [unrolled: 1-line block ×4, first 2 shown]
	v_fma_f64 v[216:217], v[90:91], s[14:15], -v[34:35]
	v_fma_f64 v[224:225], v[104:105], s[14:15], v[32:33]
	v_add_f64 v[120:121], v[238:239], v[190:191]
	v_add_f64 v[18:19], v[22:23], v[18:19]
	;; [unrolled: 1-line block ×4, first 2 shown]
	v_mul_f64 v[138:139], v[100:101], s[18:19]
	v_mul_f64 v[148:149], v[102:103], s[18:19]
	v_fma_f64 v[236:237], v[90:91], s[0:1], -v[60:61]
	v_fma_f64 v[244:245], v[104:105], s[0:1], v[184:185]
	v_add_f64 v[58:59], v[58:59], v[192:193]
	v_add_f64 v[30:31], v[182:183], v[30:31]
	v_mul_f64 v[100:101], v[100:101], s[28:29]
	v_mul_f64 v[102:103], v[102:103], s[28:29]
	v_fma_f64 v[162:163], v[90:91], s[10:11], -v[96:97]
	v_fma_f64 v[72:73], v[104:105], s[10:11], v[98:99]
	v_add_f64 v[56:57], v[170:171], v[56:57]
	v_add_f64 v[50:51], v[172:173], v[50:51]
	v_fma_f64 v[96:97], v[90:91], s[10:11], v[96:97]
	v_fma_f64 v[98:99], v[104:105], s[10:11], -v[98:99]
	v_add_f64 v[62:63], v[76:77], v[62:63]
	v_add_f64 v[36:37], v[78:79], v[36:37]
	v_fma_f64 v[20:21], v[90:91], s[12:13], -v[82:83]
	v_fma_f64 v[22:23], v[90:91], s[6:7], v[212:213]
	v_fma_f64 v[82:83], v[90:91], s[2:3], v[232:233]
	;; [unrolled: 1-line block ×4, first 2 shown]
	v_fma_f64 v[122:123], v[104:105], s[6:7], -v[220:221]
	v_fma_f64 v[124:125], v[104:105], s[2:3], -v[240:241]
	;; [unrolled: 1-line block ×4, first 2 shown]
	v_add_f64 v[76:77], v[136:137], v[128:129]
	v_add_f64 v[78:79], v[146:147], v[112:113]
	;; [unrolled: 1-line block ×5, first 2 shown]
	v_fma_f64 v[34:35], v[90:91], s[14:15], v[34:35]
	v_add_f64 v[112:113], v[166:167], v[114:115]
	v_add_f64 v[44:45], v[126:127], v[52:53]
	;; [unrolled: 1-line block ×7, first 2 shown]
	v_fma_f64 v[194:195], v[106:107], s[0:1], -v[222:223]
	v_fma_f64 v[84:85], v[108:109], s[0:1], v[230:231]
	v_add_f64 v[16:17], v[158:159], v[28:29]
	v_add_f64 v[18:19], v[38:39], v[118:119]
	;; [unrolled: 1-line block ×4, first 2 shown]
	v_fma_f64 v[24:25], v[106:107], s[12:13], -v[242:243]
	v_fma_f64 v[214:215], v[108:109], s[12:13], v[248:249]
	v_add_f64 v[42:43], v[206:207], v[132:133]
	v_add_f64 v[26:27], v[26:27], v[40:41]
	v_fma_f64 v[168:169], v[106:107], s[14:15], v[204:205]
	v_fma_f64 v[160:161], v[108:109], s[14:15], -v[210:211]
	v_fma_f64 v[226:227], v[106:107], s[2:3], -v[202:203]
	v_fma_f64 v[234:235], v[108:109], s[2:3], v[80:81]
	v_add_f64 v[40:41], v[216:217], v[120:121]
	v_add_f64 v[116:117], v[224:225], v[116:117]
	v_fma_f64 v[246:247], v[106:107], s[10:11], -v[138:139]
	v_fma_f64 v[196:197], v[108:109], s[10:11], v[148:149]
	v_add_f64 v[58:59], v[236:237], v[58:59]
	v_add_f64 v[30:31], v[244:245], v[30:31]
	;; [unrolled: 4-line block ×3, first 2 shown]
	v_fma_f64 v[54:55], v[106:107], s[6:7], v[100:101]
	v_fma_f64 v[86:87], v[108:109], s[6:7], -v[102:103]
	v_add_f64 v[62:63], v[96:97], v[62:63]
	v_add_f64 v[36:37], v[98:99], v[36:37]
	v_fma_f64 v[100:101], v[106:107], s[14:15], -v[204:205]
	v_fma_f64 v[102:103], v[106:107], s[0:1], v[222:223]
	v_fma_f64 v[114:115], v[106:107], s[12:13], v[242:243]
	;; [unrolled: 1-line block ×5, first 2 shown]
	v_fma_f64 v[134:135], v[108:109], s[0:1], -v[230:231]
	v_fma_f64 v[136:137], v[108:109], s[12:13], -v[248:249]
	v_fma_f64 v[80:81], v[108:109], s[2:3], -v[80:81]
	v_fma_f64 v[108:109], v[108:109], s[10:11], -v[148:149]
	v_add_f64 v[72:73], v[20:21], v[76:77]
	v_add_f64 v[76:77], v[22:23], v[78:79]
	;; [unrolled: 1-line block ×24, first 2 shown]
	v_cmp_gt_u32_e64 s0, 13, v64
	v_add_f64 v[28:29], v[54:55], v[62:63]
	v_add_f64 v[30:31], v[86:87], v[36:37]
	;; [unrolled: 1-line block ×14, first 2 shown]
	v_and_b32_e32 v4, 0xffff, v65
	v_lshlrev_b32_e32 v5, 4, v69
                                        ; implicit-def: $vgpr6_vgpr7
	s_delay_alu instid0(VALU_DEP_2) | instskip(NEXT) | instid1(VALU_DEP_1)
	v_mul_u32_u24_e32 v4, 0xa90, v4
	v_add3_u32 v4, 0, v4, v5
	ds_store_b128 v4, v[8:11] offset:416
	ds_store_b128 v4, v[12:15] offset:624
	;; [unrolled: 1-line block ×12, first 2 shown]
	ds_store_b128 v4, v[52:55]
	s_waitcnt lgkmcnt(0)
	s_barrier
	buffer_gl0_inv
	ds_load_b128 v[16:19], v92
	ds_load_b128 v[48:51], v92 offset:2704
	ds_load_b128 v[44:47], v92 offset:5408
	;; [unrolled: 1-line block ×3, first 2 shown]
	ds_load_b128 v[24:27], v95
	ds_load_b128 v[20:23], v94
	ds_load_b128 v[52:55], v92 offset:3536
	ds_load_b128 v[32:35], v92 offset:4368
	;; [unrolled: 1-line block ×6, first 2 shown]
                                        ; implicit-def: $vgpr10_vgpr11
                                        ; implicit-def: $vgpr14_vgpr15
	s_and_saveexec_b32 s1, s0
	s_cbranch_execz .LBB0_15
; %bb.14:
	ds_load_b128 v[0:3], v93
	ds_load_b128 v[4:7], v92 offset:5200
	ds_load_b128 v[8:11], v92 offset:7904
	;; [unrolled: 1-line block ×3, first 2 shown]
.LBB0_15:
	s_or_b32 exec_lo, exec_lo, s1
	v_mul_i32_i24_e32 v72, 3, v68
	v_mov_b32_e32 v73, 0
	v_mul_u32_u24_e32 v65, 3, v64
	s_delay_alu instid0(VALU_DEP_2) | instskip(SKIP_1) | instid1(VALU_DEP_3)
	v_lshlrev_b64 v[74:75], 4, v[72:73]
	v_mul_i32_i24_e32 v72, 3, v71
	v_lshlrev_b32_e32 v65, 4, v65
	s_delay_alu instid0(VALU_DEP_2) | instskip(NEXT) | instid1(VALU_DEP_4)
	v_lshlrev_b64 v[96:97], 4, v[72:73]
	v_add_co_u32 v90, s1, s4, v74
	s_delay_alu instid0(VALU_DEP_1)
	v_add_co_ci_u32_e64 v91, s1, s5, v75, s1
	s_clause 0x3
	global_load_b128 v[74:77], v65, s[4:5] offset:2496
	global_load_b128 v[78:81], v65, s[4:5] offset:2512
	;; [unrolled: 1-line block ×3, first 2 shown]
	global_load_b128 v[86:89], v[90:91], off offset:2496
	v_add_co_u32 v112, s1, s4, v96
	s_delay_alu instid0(VALU_DEP_1)
	v_add_co_ci_u32_e64 v113, s1, s5, v97, s1
	s_clause 0x4
	global_load_b128 v[96:99], v[90:91], off offset:2512
	global_load_b128 v[100:103], v[90:91], off offset:2528
	;; [unrolled: 1-line block ×5, first 2 shown]
	s_waitcnt vmcnt(0) lgkmcnt(0)
	s_barrier
	buffer_gl0_inv
	v_mul_f64 v[90:91], v[50:51], v[76:77]
	v_mul_f64 v[76:77], v[48:49], v[76:77]
	;; [unrolled: 1-line block ×18, first 2 shown]
	v_fma_f64 v[48:49], v[48:49], v[74:75], -v[90:91]
	v_fma_f64 v[50:51], v[50:51], v[74:75], v[76:77]
	v_fma_f64 v[44:45], v[44:45], v[78:79], -v[116:117]
	v_fma_f64 v[46:47], v[46:47], v[78:79], v[80:81]
	;; [unrolled: 2-line block ×9, first 2 shown]
	v_add_f64 v[44:45], v[16:17], -v[44:45]
	v_add_f64 v[46:47], v[18:19], -v[46:47]
	;; [unrolled: 1-line block ×12, first 2 shown]
	v_fma_f64 v[58:59], v[16:17], 2.0, -v[44:45]
	v_fma_f64 v[80:81], v[18:19], 2.0, -v[46:47]
	;; [unrolled: 1-line block ×4, first 2 shown]
	v_add_f64 v[16:17], v[44:45], -v[62:63]
	v_add_f64 v[18:19], v[46:47], v[60:61]
	v_fma_f64 v[82:83], v[24:25], 2.0, -v[74:75]
	v_fma_f64 v[84:85], v[26:27], 2.0, -v[76:77]
	;; [unrolled: 1-line block ×8, first 2 shown]
	v_add_f64 v[22:23], v[76:77], v[28:29]
	v_add_f64 v[28:29], v[56:57], -v[36:37]
	v_add_f64 v[20:21], v[74:75], -v[30:31]
	v_add_f64 v[30:31], v[78:79], v[40:41]
	v_add_f64 v[24:25], v[58:59], -v[38:39]
	v_add_f64 v[26:27], v[80:81], -v[42:43]
	v_fma_f64 v[40:41], v[44:45], 2.0, -v[16:17]
	v_fma_f64 v[42:43], v[46:47], 2.0, -v[18:19]
	v_add_f64 v[32:33], v[82:83], -v[48:49]
	v_add_f64 v[34:35], v[84:85], -v[50:51]
	;; [unrolled: 1-line block ×4, first 2 shown]
	v_fma_f64 v[46:47], v[76:77], 2.0, -v[22:23]
	v_fma_f64 v[52:53], v[56:57], 2.0, -v[28:29]
	;; [unrolled: 1-line block ×10, first 2 shown]
	ds_store_b128 v92, v[24:27] offset:5408
	ds_store_b128 v92, v[16:19] offset:8112
	ds_store_b128 v92, v[48:51]
	ds_store_b128 v92, v[40:43] offset:2704
	ds_store_b128 v95, v[32:35] offset:5408
	;; [unrolled: 1-line block ×3, first 2 shown]
	ds_store_b128 v95, v[56:59]
	ds_store_b128 v95, v[44:47] offset:2704
	ds_store_b128 v94, v[60:63]
	ds_store_b128 v94, v[52:55] offset:2704
	ds_store_b128 v94, v[36:39] offset:5408
	;; [unrolled: 1-line block ×3, first 2 shown]
	s_and_saveexec_b32 s1, s0
	s_cbranch_execz .LBB0_17
; %bb.16:
	v_add_nc_u32_e32 v16, -13, v64
	s_delay_alu instid0(VALU_DEP_1) | instskip(NEXT) | instid1(VALU_DEP_1)
	v_cndmask_b32_e64 v16, v16, v70, s0
	v_mul_i32_i24_e32 v72, 3, v16
	s_delay_alu instid0(VALU_DEP_1) | instskip(NEXT) | instid1(VALU_DEP_1)
	v_lshlrev_b64 v[16:17], 4, v[72:73]
	v_add_co_u32 v24, s0, s4, v16
	s_delay_alu instid0(VALU_DEP_1)
	v_add_co_ci_u32_e64 v25, s0, s5, v17, s0
	s_clause 0x2
	global_load_b128 v[16:19], v[24:25], off offset:2512
	global_load_b128 v[20:23], v[24:25], off offset:2496
	;; [unrolled: 1-line block ×3, first 2 shown]
	s_waitcnt vmcnt(2)
	v_mul_f64 v[28:29], v[8:9], v[18:19]
	s_waitcnt vmcnt(1)
	v_mul_f64 v[30:31], v[6:7], v[22:23]
	v_mul_f64 v[22:23], v[4:5], v[22:23]
	s_waitcnt vmcnt(0)
	v_mul_f64 v[32:33], v[12:13], v[26:27]
	v_mul_f64 v[18:19], v[10:11], v[18:19]
	;; [unrolled: 1-line block ×3, first 2 shown]
	v_fma_f64 v[10:11], v[10:11], v[16:17], v[28:29]
	v_fma_f64 v[4:5], v[4:5], v[20:21], -v[30:31]
	v_fma_f64 v[6:7], v[6:7], v[20:21], v[22:23]
	v_fma_f64 v[14:15], v[14:15], v[24:25], v[32:33]
	v_fma_f64 v[8:9], v[8:9], v[16:17], -v[18:19]
	v_fma_f64 v[12:13], v[12:13], v[24:25], -v[26:27]
	v_add_f64 v[10:11], v[2:3], -v[10:11]
	s_delay_alu instid0(VALU_DEP_4) | instskip(NEXT) | instid1(VALU_DEP_4)
	v_add_f64 v[14:15], v[6:7], -v[14:15]
	v_add_f64 v[8:9], v[0:1], -v[8:9]
	s_delay_alu instid0(VALU_DEP_4) | instskip(NEXT) | instid1(VALU_DEP_4)
	v_add_f64 v[12:13], v[4:5], -v[12:13]
	v_fma_f64 v[16:17], v[2:3], 2.0, -v[10:11]
	s_delay_alu instid0(VALU_DEP_4) | instskip(NEXT) | instid1(VALU_DEP_4)
	v_fma_f64 v[6:7], v[6:7], 2.0, -v[14:15]
	v_fma_f64 v[18:19], v[0:1], 2.0, -v[8:9]
	s_delay_alu instid0(VALU_DEP_4) | instskip(SKIP_1) | instid1(VALU_DEP_4)
	v_fma_f64 v[0:1], v[4:5], 2.0, -v[12:13]
	v_add_f64 v[2:3], v[10:11], v[12:13]
	v_add_f64 v[6:7], v[16:17], -v[6:7]
	s_delay_alu instid0(VALU_DEP_3) | instskip(SKIP_1) | instid1(VALU_DEP_4)
	v_add_f64 v[4:5], v[18:19], -v[0:1]
	v_add_f64 v[0:1], v[8:9], -v[14:15]
	v_fma_f64 v[10:11], v[10:11], 2.0, -v[2:3]
	s_delay_alu instid0(VALU_DEP_4) | instskip(NEXT) | instid1(VALU_DEP_4)
	v_fma_f64 v[14:15], v[16:17], 2.0, -v[6:7]
	v_fma_f64 v[12:13], v[18:19], 2.0, -v[4:5]
	s_delay_alu instid0(VALU_DEP_4)
	v_fma_f64 v[8:9], v[8:9], 2.0, -v[0:1]
	ds_store_b128 v92, v[12:15] offset:2496
	ds_store_b128 v92, v[8:11] offset:5200
	;; [unrolled: 1-line block ×4, first 2 shown]
.LBB0_17:
	s_or_b32 exec_lo, exec_lo, s1
	s_waitcnt lgkmcnt(0)
	s_barrier
	buffer_gl0_inv
	ds_load_b128 v[4:7], v92
	v_lshlrev_b32_e32 v0, 4, v64
	s_add_u32 s1, s4, 0x2970
	s_addc_u32 s2, s5, 0
	s_mov_b32 s3, exec_lo
                                        ; implicit-def: $vgpr2_vgpr3
                                        ; implicit-def: $vgpr10_vgpr11
                                        ; implicit-def: $vgpr8_vgpr9
	s_delay_alu instid0(VALU_DEP_1)
	v_sub_nc_u32_e32 v12, 0, v0
	v_cmpx_ne_u32_e32 0, v64
	s_xor_b32 s3, exec_lo, s3
	s_cbranch_execz .LBB0_19
; %bb.18:
	v_mov_b32_e32 v65, 0
	s_delay_alu instid0(VALU_DEP_1) | instskip(NEXT) | instid1(VALU_DEP_1)
	v_lshlrev_b64 v[0:1], 4, v[64:65]
	v_add_co_u32 v0, s0, s1, v0
	s_delay_alu instid0(VALU_DEP_1)
	v_add_co_ci_u32_e64 v1, s0, s2, v1, s0
	global_load_b128 v[8:11], v[0:1], off
	ds_load_b128 v[0:3], v12 offset:10816
	s_waitcnt lgkmcnt(0)
	v_add_f64 v[13:14], v[4:5], -v[0:1]
	v_add_f64 v[15:16], v[6:7], v[2:3]
	v_add_f64 v[2:3], v[6:7], -v[2:3]
	v_add_f64 v[0:1], v[4:5], v[0:1]
	s_delay_alu instid0(VALU_DEP_4) | instskip(NEXT) | instid1(VALU_DEP_4)
	v_mul_f64 v[6:7], v[13:14], 0.5
	v_mul_f64 v[4:5], v[15:16], 0.5
	s_delay_alu instid0(VALU_DEP_4) | instskip(SKIP_1) | instid1(VALU_DEP_3)
	v_mul_f64 v[2:3], v[2:3], 0.5
	s_waitcnt vmcnt(0)
	v_mul_f64 v[13:14], v[6:7], v[10:11]
	s_delay_alu instid0(VALU_DEP_2) | instskip(SKIP_1) | instid1(VALU_DEP_3)
	v_fma_f64 v[15:16], v[4:5], v[10:11], v[2:3]
	v_fma_f64 v[2:3], v[4:5], v[10:11], -v[2:3]
	v_fma_f64 v[17:18], v[0:1], 0.5, v[13:14]
	v_fma_f64 v[0:1], v[0:1], 0.5, -v[13:14]
	s_delay_alu instid0(VALU_DEP_4) | instskip(NEXT) | instid1(VALU_DEP_4)
	v_fma_f64 v[10:11], -v[8:9], v[6:7], v[15:16]
	v_fma_f64 v[2:3], -v[8:9], v[6:7], v[2:3]
	s_delay_alu instid0(VALU_DEP_4) | instskip(NEXT) | instid1(VALU_DEP_4)
	v_fma_f64 v[13:14], v[4:5], v[8:9], v[17:18]
	v_fma_f64 v[0:1], -v[4:5], v[8:9], v[0:1]
	v_dual_mov_b32 v8, v64 :: v_dual_mov_b32 v9, v65
                                        ; implicit-def: $vgpr4_vgpr5
	ds_store_b64 v92, v[13:14]
.LBB0_19:
	s_and_not1_saveexec_b32 s0, s3
	s_cbranch_execz .LBB0_21
; %bb.20:
	s_waitcnt lgkmcnt(0)
	v_add_f64 v[13:14], v[4:5], v[6:7]
	v_add_f64 v[0:1], v[4:5], -v[6:7]
	v_mov_b32_e32 v6, 0
	v_mov_b32_e32 v10, 0
	v_dual_mov_b32 v11, 0 :: v_dual_mov_b32 v8, 0
	s_delay_alu instid0(VALU_DEP_2)
	v_mov_b32_e32 v2, v10
	ds_load_b64 v[4:5], v6 offset:5416
	v_mov_b32_e32 v9, 0
	v_mov_b32_e32 v3, v11
	s_waitcnt lgkmcnt(0)
	v_xor_b32_e32 v5, 0x80000000, v5
	ds_store_b64 v92, v[13:14]
	ds_store_b64 v6, v[4:5] offset:5416
.LBB0_21:
	s_or_b32 exec_lo, exec_lo, s0
	v_mov_b32_e32 v69, 0
	s_waitcnt lgkmcnt(0)
	s_delay_alu instid0(VALU_DEP_1) | instskip(SKIP_1) | instid1(VALU_DEP_1)
	v_lshlrev_b64 v[4:5], 4, v[68:69]
	v_mov_b32_e32 v72, v69
	v_lshlrev_b64 v[13:14], 4, v[71:72]
	s_delay_alu instid0(VALU_DEP_3) | instskip(NEXT) | instid1(VALU_DEP_1)
	v_add_co_u32 v4, s0, s1, v4
	v_add_co_ci_u32_e64 v5, s0, s2, v5, s0
	v_mov_b32_e32 v71, v69
	s_delay_alu instid0(VALU_DEP_4)
	v_add_co_u32 v13, s0, s1, v13
	global_load_b128 v[4:7], v[4:5], off
	v_add_co_ci_u32_e64 v14, s0, s2, v14, s0
	global_load_b128 v[13:16], v[13:14], off
	ds_store_b64 v92, v[10:11] offset:8
	ds_store_b128 v12, v[0:3] offset:10816
	ds_load_b128 v[17:20], v95
	ds_load_b128 v[21:24], v12 offset:9984
	s_waitcnt lgkmcnt(0)
	v_add_f64 v[0:1], v[17:18], -v[21:22]
	v_add_f64 v[2:3], v[19:20], v[23:24]
	v_add_f64 v[19:20], v[19:20], -v[23:24]
	v_add_f64 v[17:18], v[17:18], v[21:22]
	s_delay_alu instid0(VALU_DEP_4) | instskip(NEXT) | instid1(VALU_DEP_4)
	v_mul_f64 v[23:24], v[0:1], 0.5
	v_mul_f64 v[2:3], v[2:3], 0.5
	s_delay_alu instid0(VALU_DEP_4) | instskip(SKIP_1) | instid1(VALU_DEP_1)
	v_mul_f64 v[19:20], v[19:20], 0.5
	v_lshlrev_b64 v[0:1], 4, v[8:9]
	v_add_co_u32 v25, s0, s1, v0
	s_delay_alu instid0(VALU_DEP_1)
	v_add_co_ci_u32_e64 v26, s0, s2, v1, s0
	global_load_b128 v[8:11], v[25:26], off offset:3328
	s_waitcnt vmcnt(2)
	v_mul_f64 v[21:22], v[23:24], v[6:7]
	v_fma_f64 v[27:28], v[2:3], v[6:7], v[19:20]
	v_fma_f64 v[6:7], v[2:3], v[6:7], -v[19:20]
	s_delay_alu instid0(VALU_DEP_3) | instskip(SKIP_1) | instid1(VALU_DEP_4)
	v_fma_f64 v[29:30], v[17:18], 0.5, v[21:22]
	v_fma_f64 v[21:22], v[17:18], 0.5, -v[21:22]
	v_fma_f64 v[19:20], -v[4:5], v[23:24], v[27:28]
	s_delay_alu instid0(VALU_DEP_4) | instskip(NEXT) | instid1(VALU_DEP_4)
	v_fma_f64 v[6:7], -v[4:5], v[23:24], v[6:7]
	v_fma_f64 v[17:18], v[2:3], v[4:5], v[29:30]
	s_delay_alu instid0(VALU_DEP_4) | instskip(SKIP_1) | instid1(VALU_DEP_1)
	v_fma_f64 v[4:5], -v[2:3], v[4:5], v[21:22]
	v_lshlrev_b64 v[2:3], 4, v[70:71]
	v_add_co_u32 v2, s0, s1, v2
	s_delay_alu instid0(VALU_DEP_1)
	v_add_co_ci_u32_e64 v3, s0, s2, v3, s0
	s_mov_b32 s1, exec_lo
	global_load_b128 v[21:24], v[2:3], off
	ds_store_b128 v95, v[17:20]
	ds_store_b128 v12, v[4:7] offset:9984
	ds_load_b128 v[2:5], v94
	ds_load_b128 v[17:20], v12 offset:9152
	s_waitcnt lgkmcnt(0)
	v_add_f64 v[6:7], v[2:3], -v[17:18]
	v_add_f64 v[27:28], v[4:5], v[19:20]
	v_add_f64 v[4:5], v[4:5], -v[19:20]
	v_add_f64 v[2:3], v[2:3], v[17:18]
	s_delay_alu instid0(VALU_DEP_4) | instskip(NEXT) | instid1(VALU_DEP_4)
	v_mul_f64 v[6:7], v[6:7], 0.5
	v_mul_f64 v[19:20], v[27:28], 0.5
	s_delay_alu instid0(VALU_DEP_4) | instskip(SKIP_1) | instid1(VALU_DEP_3)
	v_mul_f64 v[4:5], v[4:5], 0.5
	s_waitcnt vmcnt(2)
	v_mul_f64 v[17:18], v[6:7], v[15:16]
	s_delay_alu instid0(VALU_DEP_2) | instskip(SKIP_1) | instid1(VALU_DEP_3)
	v_fma_f64 v[27:28], v[19:20], v[15:16], v[4:5]
	v_fma_f64 v[15:16], v[19:20], v[15:16], -v[4:5]
	v_fma_f64 v[29:30], v[2:3], 0.5, v[17:18]
	v_fma_f64 v[17:18], v[2:3], 0.5, -v[17:18]
	s_delay_alu instid0(VALU_DEP_4) | instskip(NEXT) | instid1(VALU_DEP_4)
	v_fma_f64 v[4:5], -v[13:14], v[6:7], v[27:28]
	v_fma_f64 v[15:16], -v[13:14], v[6:7], v[15:16]
	s_delay_alu instid0(VALU_DEP_4) | instskip(NEXT) | instid1(VALU_DEP_4)
	v_fma_f64 v[2:3], v[19:20], v[13:14], v[29:30]
	v_fma_f64 v[13:14], -v[19:20], v[13:14], v[17:18]
	ds_store_b128 v94, v[2:5]
	ds_store_b128 v12, v[13:16] offset:9152
	ds_load_b128 v[2:5], v93
	ds_load_b128 v[13:16], v12 offset:8320
	s_waitcnt lgkmcnt(0)
	v_add_f64 v[6:7], v[2:3], -v[13:14]
	v_add_f64 v[17:18], v[4:5], v[15:16]
	v_add_f64 v[4:5], v[4:5], -v[15:16]
	v_add_f64 v[2:3], v[2:3], v[13:14]
	s_delay_alu instid0(VALU_DEP_4) | instskip(NEXT) | instid1(VALU_DEP_4)
	v_mul_f64 v[15:16], v[6:7], 0.5
	v_mul_f64 v[17:18], v[17:18], 0.5
	s_delay_alu instid0(VALU_DEP_4) | instskip(SKIP_1) | instid1(VALU_DEP_3)
	v_mul_f64 v[4:5], v[4:5], 0.5
	s_waitcnt vmcnt(0)
	v_mul_f64 v[6:7], v[15:16], v[23:24]
	s_delay_alu instid0(VALU_DEP_2) | instskip(SKIP_1) | instid1(VALU_DEP_3)
	v_fma_f64 v[13:14], v[17:18], v[23:24], v[4:5]
	v_fma_f64 v[4:5], v[17:18], v[23:24], -v[4:5]
	v_fma_f64 v[19:20], v[2:3], 0.5, v[6:7]
	v_fma_f64 v[2:3], v[2:3], 0.5, -v[6:7]
	s_delay_alu instid0(VALU_DEP_4) | instskip(NEXT) | instid1(VALU_DEP_4)
	v_fma_f64 v[6:7], -v[21:22], v[15:16], v[13:14]
	v_fma_f64 v[15:16], -v[21:22], v[15:16], v[4:5]
	s_delay_alu instid0(VALU_DEP_4) | instskip(NEXT) | instid1(VALU_DEP_4)
	v_fma_f64 v[4:5], v[17:18], v[21:22], v[19:20]
	v_fma_f64 v[13:14], -v[17:18], v[21:22], v[2:3]
	v_add_co_u32 v2, s0, 0x1000, v25
	s_delay_alu instid0(VALU_DEP_1)
	v_add_co_ci_u32_e64 v3, s0, 0, v26, s0
	global_load_b128 v[17:20], v[2:3], off offset:64
	ds_store_b128 v93, v[4:7]
	ds_store_b128 v12, v[13:16] offset:8320
	ds_load_b128 v[4:7], v92 offset:3328
	ds_load_b128 v[13:16], v12 offset:7488
	s_waitcnt lgkmcnt(0)
	v_add_f64 v[21:22], v[4:5], -v[13:14]
	v_add_f64 v[23:24], v[6:7], v[15:16]
	v_add_f64 v[6:7], v[6:7], -v[15:16]
	v_add_f64 v[4:5], v[4:5], v[13:14]
	s_delay_alu instid0(VALU_DEP_4) | instskip(NEXT) | instid1(VALU_DEP_4)
	v_mul_f64 v[15:16], v[21:22], 0.5
	v_mul_f64 v[21:22], v[23:24], 0.5
	s_delay_alu instid0(VALU_DEP_4) | instskip(NEXT) | instid1(VALU_DEP_3)
	v_mul_f64 v[6:7], v[6:7], 0.5
	v_mul_f64 v[13:14], v[15:16], v[10:11]
	s_delay_alu instid0(VALU_DEP_2) | instskip(SKIP_1) | instid1(VALU_DEP_3)
	v_fma_f64 v[23:24], v[21:22], v[10:11], v[6:7]
	v_fma_f64 v[10:11], v[21:22], v[10:11], -v[6:7]
	v_fma_f64 v[25:26], v[4:5], 0.5, v[13:14]
	v_fma_f64 v[13:14], v[4:5], 0.5, -v[13:14]
	s_delay_alu instid0(VALU_DEP_4) | instskip(NEXT) | instid1(VALU_DEP_4)
	v_fma_f64 v[6:7], -v[8:9], v[15:16], v[23:24]
	v_fma_f64 v[10:11], -v[8:9], v[15:16], v[10:11]
	s_delay_alu instid0(VALU_DEP_4) | instskip(NEXT) | instid1(VALU_DEP_4)
	v_fma_f64 v[4:5], v[21:22], v[8:9], v[25:26]
	v_fma_f64 v[8:9], -v[21:22], v[8:9], v[13:14]
	ds_store_b128 v92, v[4:7] offset:3328
	ds_store_b128 v12, v[8:11] offset:7488
	ds_load_b128 v[4:7], v92 offset:4160
	ds_load_b128 v[8:11], v12 offset:6656
	s_waitcnt lgkmcnt(0)
	v_add_f64 v[13:14], v[4:5], -v[8:9]
	v_add_f64 v[15:16], v[6:7], v[10:11]
	v_add_f64 v[6:7], v[6:7], -v[10:11]
	v_add_f64 v[4:5], v[4:5], v[8:9]
	s_delay_alu instid0(VALU_DEP_4) | instskip(NEXT) | instid1(VALU_DEP_4)
	v_mul_f64 v[10:11], v[13:14], 0.5
	v_mul_f64 v[13:14], v[15:16], 0.5
	s_delay_alu instid0(VALU_DEP_4) | instskip(SKIP_1) | instid1(VALU_DEP_3)
	v_mul_f64 v[6:7], v[6:7], 0.5
	s_waitcnt vmcnt(0)
	v_mul_f64 v[8:9], v[10:11], v[19:20]
	s_delay_alu instid0(VALU_DEP_2) | instskip(SKIP_1) | instid1(VALU_DEP_3)
	v_fma_f64 v[15:16], v[13:14], v[19:20], v[6:7]
	v_fma_f64 v[19:20], v[13:14], v[19:20], -v[6:7]
	v_fma_f64 v[21:22], v[4:5], 0.5, v[8:9]
	v_fma_f64 v[8:9], v[4:5], 0.5, -v[8:9]
	s_delay_alu instid0(VALU_DEP_4) | instskip(NEXT) | instid1(VALU_DEP_4)
	v_fma_f64 v[6:7], -v[17:18], v[10:11], v[15:16]
	v_fma_f64 v[10:11], -v[17:18], v[10:11], v[19:20]
	s_delay_alu instid0(VALU_DEP_4) | instskip(NEXT) | instid1(VALU_DEP_4)
	v_fma_f64 v[4:5], v[13:14], v[17:18], v[21:22]
	v_fma_f64 v[8:9], -v[13:14], v[17:18], v[8:9]
	ds_store_b128 v92, v[4:7] offset:4160
	ds_store_b128 v12, v[8:11] offset:6656
	v_cmpx_gt_u32_e32 26, v64
	s_cbranch_execz .LBB0_23
; %bb.22:
	global_load_b128 v[2:5], v[2:3], off offset:896
	ds_load_b128 v[6:9], v92 offset:4992
	ds_load_b128 v[13:16], v12 offset:5824
	s_waitcnt lgkmcnt(0)
	v_add_f64 v[10:11], v[6:7], -v[13:14]
	v_add_f64 v[17:18], v[8:9], v[15:16]
	v_add_f64 v[8:9], v[8:9], -v[15:16]
	v_add_f64 v[6:7], v[6:7], v[13:14]
	s_delay_alu instid0(VALU_DEP_4) | instskip(NEXT) | instid1(VALU_DEP_4)
	v_mul_f64 v[10:11], v[10:11], 0.5
	v_mul_f64 v[15:16], v[17:18], 0.5
	s_delay_alu instid0(VALU_DEP_4) | instskip(SKIP_1) | instid1(VALU_DEP_3)
	v_mul_f64 v[8:9], v[8:9], 0.5
	s_waitcnt vmcnt(0)
	v_mul_f64 v[13:14], v[10:11], v[4:5]
	s_delay_alu instid0(VALU_DEP_2) | instskip(SKIP_1) | instid1(VALU_DEP_3)
	v_fma_f64 v[17:18], v[15:16], v[4:5], v[8:9]
	v_fma_f64 v[4:5], v[15:16], v[4:5], -v[8:9]
	v_fma_f64 v[8:9], v[6:7], 0.5, v[13:14]
	v_fma_f64 v[13:14], v[6:7], 0.5, -v[13:14]
	s_delay_alu instid0(VALU_DEP_4) | instskip(NEXT) | instid1(VALU_DEP_4)
	v_fma_f64 v[6:7], -v[2:3], v[10:11], v[17:18]
	v_fma_f64 v[10:11], -v[2:3], v[10:11], v[4:5]
	s_delay_alu instid0(VALU_DEP_4) | instskip(NEXT) | instid1(VALU_DEP_4)
	v_fma_f64 v[4:5], v[15:16], v[2:3], v[8:9]
	v_fma_f64 v[8:9], -v[15:16], v[2:3], v[13:14]
	ds_store_b128 v92, v[4:7] offset:4992
	ds_store_b128 v12, v[8:11] offset:5824
.LBB0_23:
	s_or_b32 exec_lo, exec_lo, s1
	s_waitcnt lgkmcnt(0)
	s_barrier
	buffer_gl0_inv
	s_and_saveexec_b32 s0, vcc_lo
	s_cbranch_execz .LBB0_26
; %bb.24:
	ds_load_b128 v[4:7], v92
	ds_load_b128 v[8:11], v92 offset:832
	ds_load_b128 v[12:15], v92 offset:1664
	;; [unrolled: 1-line block ×5, first 2 shown]
	v_add_co_u32 v2, vcc_lo, s8, v66
	ds_load_b128 v[28:31], v92 offset:4992
	ds_load_b128 v[32:35], v92 offset:5824
	;; [unrolled: 1-line block ×7, first 2 shown]
	v_add_co_ci_u32_e32 v3, vcc_lo, s9, v67, vcc_lo
	v_add_co_u32 v0, vcc_lo, v2, v0
	s_delay_alu instid0(VALU_DEP_2) | instskip(NEXT) | instid1(VALU_DEP_2)
	v_add_co_ci_u32_e32 v1, vcc_lo, v3, v1, vcc_lo
	v_add_co_u32 v56, vcc_lo, 0x1000, v0
	s_delay_alu instid0(VALU_DEP_2)
	v_add_co_ci_u32_e32 v57, vcc_lo, 0, v1, vcc_lo
	s_waitcnt lgkmcnt(12)
	global_store_b128 v[0:1], v[4:7], off
	s_waitcnt lgkmcnt(11)
	global_store_b128 v[0:1], v[8:11], off offset:832
	s_waitcnt lgkmcnt(10)
	global_store_b128 v[0:1], v[12:15], off offset:1664
	;; [unrolled: 2-line block ×5, first 2 shown]
	v_add_co_u32 v0, vcc_lo, 0x2000, v0
	v_add_co_ci_u32_e32 v1, vcc_lo, 0, v1, vcc_lo
	v_cmp_eq_u32_e32 vcc_lo, 51, v64
	s_waitcnt lgkmcnt(6)
	global_store_b128 v[56:57], v[28:31], off offset:896
	s_waitcnt lgkmcnt(5)
	global_store_b128 v[56:57], v[32:35], off offset:1728
	;; [unrolled: 2-line block ×7, first 2 shown]
	s_and_b32 exec_lo, exec_lo, vcc_lo
	s_cbranch_execz .LBB0_26
; %bb.25:
	v_mov_b32_e32 v0, 0
	ds_load_b128 v[4:7], v0 offset:10816
	v_add_co_u32 v0, vcc_lo, 0x2000, v2
	v_add_co_ci_u32_e32 v1, vcc_lo, 0, v3, vcc_lo
	s_waitcnt lgkmcnt(0)
	global_store_b128 v[0:1], v[4:7], off offset:2624
.LBB0_26:
	s_nop 0
	s_sendmsg sendmsg(MSG_DEALLOC_VGPRS)
	s_endpgm
	.section	.rodata,"a",@progbits
	.p2align	6, 0x0
	.amdhsa_kernel fft_rtc_fwd_len676_factors_13_13_4_wgs_52_tpt_52_dp_ip_CI_unitstride_sbrr_R2C_dirReg
		.amdhsa_group_segment_fixed_size 0
		.amdhsa_private_segment_fixed_size 0
		.amdhsa_kernarg_size 88
		.amdhsa_user_sgpr_count 15
		.amdhsa_user_sgpr_dispatch_ptr 0
		.amdhsa_user_sgpr_queue_ptr 0
		.amdhsa_user_sgpr_kernarg_segment_ptr 1
		.amdhsa_user_sgpr_dispatch_id 0
		.amdhsa_user_sgpr_private_segment_size 0
		.amdhsa_wavefront_size32 1
		.amdhsa_uses_dynamic_stack 0
		.amdhsa_enable_private_segment 0
		.amdhsa_system_sgpr_workgroup_id_x 1
		.amdhsa_system_sgpr_workgroup_id_y 0
		.amdhsa_system_sgpr_workgroup_id_z 0
		.amdhsa_system_sgpr_workgroup_info 0
		.amdhsa_system_vgpr_workitem_id 0
		.amdhsa_next_free_vgpr 251
		.amdhsa_next_free_sgpr 42
		.amdhsa_reserve_vcc 1
		.amdhsa_float_round_mode_32 0
		.amdhsa_float_round_mode_16_64 0
		.amdhsa_float_denorm_mode_32 3
		.amdhsa_float_denorm_mode_16_64 3
		.amdhsa_dx10_clamp 1
		.amdhsa_ieee_mode 1
		.amdhsa_fp16_overflow 0
		.amdhsa_workgroup_processor_mode 1
		.amdhsa_memory_ordered 1
		.amdhsa_forward_progress 0
		.amdhsa_shared_vgpr_count 0
		.amdhsa_exception_fp_ieee_invalid_op 0
		.amdhsa_exception_fp_denorm_src 0
		.amdhsa_exception_fp_ieee_div_zero 0
		.amdhsa_exception_fp_ieee_overflow 0
		.amdhsa_exception_fp_ieee_underflow 0
		.amdhsa_exception_fp_ieee_inexact 0
		.amdhsa_exception_int_div_zero 0
	.end_amdhsa_kernel
	.text
.Lfunc_end0:
	.size	fft_rtc_fwd_len676_factors_13_13_4_wgs_52_tpt_52_dp_ip_CI_unitstride_sbrr_R2C_dirReg, .Lfunc_end0-fft_rtc_fwd_len676_factors_13_13_4_wgs_52_tpt_52_dp_ip_CI_unitstride_sbrr_R2C_dirReg
                                        ; -- End function
	.section	.AMDGPU.csdata,"",@progbits
; Kernel info:
; codeLenInByte = 13332
; NumSgprs: 44
; NumVgprs: 251
; ScratchSize: 0
; MemoryBound: 0
; FloatMode: 240
; IeeeMode: 1
; LDSByteSize: 0 bytes/workgroup (compile time only)
; SGPRBlocks: 5
; VGPRBlocks: 31
; NumSGPRsForWavesPerEU: 44
; NumVGPRsForWavesPerEU: 251
; Occupancy: 5
; WaveLimiterHint : 1
; COMPUTE_PGM_RSRC2:SCRATCH_EN: 0
; COMPUTE_PGM_RSRC2:USER_SGPR: 15
; COMPUTE_PGM_RSRC2:TRAP_HANDLER: 0
; COMPUTE_PGM_RSRC2:TGID_X_EN: 1
; COMPUTE_PGM_RSRC2:TGID_Y_EN: 0
; COMPUTE_PGM_RSRC2:TGID_Z_EN: 0
; COMPUTE_PGM_RSRC2:TIDIG_COMP_CNT: 0
	.text
	.p2alignl 7, 3214868480
	.fill 96, 4, 3214868480
	.type	__hip_cuid_b57b994f365f3b31,@object ; @__hip_cuid_b57b994f365f3b31
	.section	.bss,"aw",@nobits
	.globl	__hip_cuid_b57b994f365f3b31
__hip_cuid_b57b994f365f3b31:
	.byte	0                               ; 0x0
	.size	__hip_cuid_b57b994f365f3b31, 1

	.ident	"AMD clang version 19.0.0git (https://github.com/RadeonOpenCompute/llvm-project roc-6.4.0 25133 c7fe45cf4b819c5991fe208aaa96edf142730f1d)"
	.section	".note.GNU-stack","",@progbits
	.addrsig
	.addrsig_sym __hip_cuid_b57b994f365f3b31
	.amdgpu_metadata
---
amdhsa.kernels:
  - .args:
      - .actual_access:  read_only
        .address_space:  global
        .offset:         0
        .size:           8
        .value_kind:     global_buffer
      - .offset:         8
        .size:           8
        .value_kind:     by_value
      - .actual_access:  read_only
        .address_space:  global
        .offset:         16
        .size:           8
        .value_kind:     global_buffer
      - .actual_access:  read_only
        .address_space:  global
        .offset:         24
        .size:           8
        .value_kind:     global_buffer
      - .offset:         32
        .size:           8
        .value_kind:     by_value
      - .actual_access:  read_only
        .address_space:  global
        .offset:         40
        .size:           8
        .value_kind:     global_buffer
      - .actual_access:  read_only
        .address_space:  global
        .offset:         48
        .size:           8
        .value_kind:     global_buffer
      - .offset:         56
        .size:           4
        .value_kind:     by_value
      - .actual_access:  read_only
        .address_space:  global
        .offset:         64
        .size:           8
        .value_kind:     global_buffer
      - .actual_access:  read_only
        .address_space:  global
        .offset:         72
        .size:           8
        .value_kind:     global_buffer
      - .address_space:  global
        .offset:         80
        .size:           8
        .value_kind:     global_buffer
    .group_segment_fixed_size: 0
    .kernarg_segment_align: 8
    .kernarg_segment_size: 88
    .language:       OpenCL C
    .language_version:
      - 2
      - 0
    .max_flat_workgroup_size: 52
    .name:           fft_rtc_fwd_len676_factors_13_13_4_wgs_52_tpt_52_dp_ip_CI_unitstride_sbrr_R2C_dirReg
    .private_segment_fixed_size: 0
    .sgpr_count:     44
    .sgpr_spill_count: 0
    .symbol:         fft_rtc_fwd_len676_factors_13_13_4_wgs_52_tpt_52_dp_ip_CI_unitstride_sbrr_R2C_dirReg.kd
    .uniform_work_group_size: 1
    .uses_dynamic_stack: false
    .vgpr_count:     251
    .vgpr_spill_count: 0
    .wavefront_size: 32
    .workgroup_processor_mode: 1
amdhsa.target:   amdgcn-amd-amdhsa--gfx1100
amdhsa.version:
  - 1
  - 2
...

	.end_amdgpu_metadata
